;; amdgpu-corpus repo=ROCm/rocSPARSE kind=compiled arch=gfx906 opt=O3
	.amdgcn_target "amdgcn-amd-amdhsa--gfx906"
	.amdhsa_code_object_version 6
	.section	.text._ZN9rocsparseL38csrgeam_fill_symbolic_multipass_kernelILj256ELj32EiiEEvllPKT1_PKT2_S3_S6_S3_PS4_21rocsparse_index_base_S8_S8_,"axG",@progbits,_ZN9rocsparseL38csrgeam_fill_symbolic_multipass_kernelILj256ELj32EiiEEvllPKT1_PKT2_S3_S6_S3_PS4_21rocsparse_index_base_S8_S8_,comdat
	.globl	_ZN9rocsparseL38csrgeam_fill_symbolic_multipass_kernelILj256ELj32EiiEEvllPKT1_PKT2_S3_S6_S3_PS4_21rocsparse_index_base_S8_S8_ ; -- Begin function _ZN9rocsparseL38csrgeam_fill_symbolic_multipass_kernelILj256ELj32EiiEEvllPKT1_PKT2_S3_S6_S3_PS4_21rocsparse_index_base_S8_S8_
	.p2align	8
	.type	_ZN9rocsparseL38csrgeam_fill_symbolic_multipass_kernelILj256ELj32EiiEEvllPKT1_PKT2_S3_S6_S3_PS4_21rocsparse_index_base_S8_S8_,@function
_ZN9rocsparseL38csrgeam_fill_symbolic_multipass_kernelILj256ELj32EiiEEvllPKT1_PKT2_S3_S6_S3_PS4_21rocsparse_index_base_S8_S8_: ; @_ZN9rocsparseL38csrgeam_fill_symbolic_multipass_kernelILj256ELj32EiiEEvllPKT1_PKT2_S3_S6_S3_PS4_21rocsparse_index_base_S8_S8_
; %bb.0:
	s_load_dwordx4 s[0:3], s[4:5], 0x0
	s_lshl_b32 s6, s6, 3
	v_lshrrev_b32_e32 v1, 5, v0
	s_and_b32 s6, s6, 0x7fffff8
	v_or_b32_e32 v1, s6, v1
	v_mov_b32_e32 v2, 0
	s_waitcnt lgkmcnt(0)
	v_cmp_gt_i64_e32 vcc, s[0:1], v[1:2]
	s_and_saveexec_b64 s[0:1], vcc
	s_cbranch_execz .LBB0_31
; %bb.1:
	s_load_dwordx4 s[8:11], s[4:5], 0x10
	s_load_dwordx2 s[0:1], s[4:5], 0x20
	s_load_dwordx2 s[6:7], s[4:5], 0x30
	s_load_dwordx4 s[12:15], s[4:5], 0x40
	v_lshlrev_b32_e32 v5, 2, v1
	s_waitcnt lgkmcnt(0)
	global_load_dwordx2 v[3:4], v5, s[8:9]
	global_load_dwordx2 v[1:2], v5, s[0:1]
	global_load_dword v11, v5, s[6:7]
	s_waitcnt vmcnt(2)
	v_cmp_ge_i32_e32 vcc, v3, v4
	s_and_saveexec_b64 s[0:1], vcc
	s_xor_b64 s[0:1], exec, s[0:1]
	s_or_saveexec_b64 s[0:1], s[0:1]
	v_subrev_u32_e32 v5, s12, v3
	v_mov_b32_e32 v3, s2
	s_xor_b64 exec, exec, s[0:1]
	s_cbranch_execz .LBB0_3
; %bb.2:
	v_ashrrev_i32_e32 v6, 31, v5
	v_lshlrev_b64 v[6:7], 2, v[5:6]
	v_mov_b32_e32 v3, s11
	v_add_co_u32_e32 v6, vcc, s10, v6
	v_addc_co_u32_e32 v7, vcc, v3, v7, vcc
	global_load_dword v3, v[6:7], off
	s_waitcnt vmcnt(0)
	v_subrev_u32_e32 v3, s12, v3
.LBB0_3:
	s_or_b64 exec, exec, s[0:1]
	s_load_dwordx2 s[6:7], s[4:5], 0x28
	s_waitcnt vmcnt(1)
	v_cmp_ge_i32_e32 vcc, v1, v2
	v_mov_b32_e32 v8, s2
	s_and_saveexec_b64 s[0:1], vcc
	s_xor_b64 s[0:1], exec, s[0:1]
; %bb.4:
	v_mov_b32_e32 v8, s2
; %bb.5:
	s_or_saveexec_b64 s[0:1], s[0:1]
	s_load_dwordx2 s[4:5], s[4:5], 0x38
	v_subrev_u32_e32 v6, s13, v1
	v_mov_b32_e32 v1, v8
	s_xor_b64 exec, exec, s[0:1]
	s_cbranch_execz .LBB0_7
; %bb.6:
	v_ashrrev_i32_e32 v7, 31, v6
	v_lshlrev_b64 v[9:10], 2, v[6:7]
	s_waitcnt lgkmcnt(0)
	v_mov_b32_e32 v1, s7
	v_add_co_u32_e32 v9, vcc, s6, v9
	v_addc_co_u32_e32 v10, vcc, v1, v10, vcc
	global_load_dword v1, v[9:10], off
	s_waitcnt vmcnt(0)
	v_subrev_u32_e32 v1, s13, v1
.LBB0_7:
	s_or_b64 exec, exec, s[0:1]
	v_subrev_u32_e32 v9, s12, v4
	v_min_i32_e32 v4, v1, v3
	v_mbcnt_lo_u32_b32 v1, -1, 0
	v_and_b32_e32 v12, 31, v0
	v_mbcnt_hi_u32_b32 v1, -1, v1
	v_and_b32_e32 v7, 0xe0, v0
	v_add_u32_e32 v0, v5, v12
	v_and_b32_e32 v3, 64, v1
	v_xor_b32_e32 v5, 31, v12
	v_add_u32_e32 v3, 64, v3
	v_lshrrev_b32_e64 v13, v5, -1
	v_xor_b32_e32 v5, 16, v1
	v_cmp_lt_i32_e32 vcc, v5, v3
	v_cndmask_b32_e32 v5, v1, v5, vcc
	v_lshlrev_b32_e32 v15, 2, v5
	v_xor_b32_e32 v5, 8, v1
	v_cmp_lt_i32_e32 vcc, v5, v3
	v_cndmask_b32_e32 v5, v1, v5, vcc
	v_lshlrev_b32_e32 v16, 2, v5
	v_xor_b32_e32 v5, 4, v1
	v_cmp_lt_i32_e32 vcc, v5, v3
	v_cndmask_b32_e32 v5, v1, v5, vcc
	v_lshlrev_b32_e32 v17, 2, v5
	v_xor_b32_e32 v5, 2, v1
	v_cmp_lt_i32_e32 vcc, v5, v3
	v_cndmask_b32_e32 v5, v1, v5, vcc
	v_lshlrev_b32_e32 v18, 2, v5
	v_xor_b32_e32 v5, 1, v1
	v_cmp_lt_i32_e32 vcc, v5, v3
	v_cndmask_b32_e32 v1, v1, v5, vcc
	v_subrev_u32_e32 v10, s13, v2
	s_waitcnt vmcnt(0)
	v_subrev_u32_e32 v11, s14, v11
	v_add_u32_e32 v2, v6, v12
	v_add_u32_e32 v14, s14, v12
	v_lshlrev_b32_e32 v19, 2, v1
	s_mov_b64 s[8:9], 0
	v_mov_b32_e32 v6, 0
	v_mov_b32_e32 v20, 1
	s_branch .LBB0_9
.LBB0_8:                                ;   in Loop: Header=BB0_9 Depth=1
	s_or_b64 exec, exec, s[14:15]
	ds_bpermute_b32 v1, v15, v21
	s_bcnt1_i32_b64 s14, vcc
	v_add_u32_e32 v11, s14, v11
	s_waitcnt lgkmcnt(0)
	v_min_i32_e32 v1, v1, v21
	ds_bpermute_b32 v3, v16, v1
	s_waitcnt lgkmcnt(0)
	v_min_i32_e32 v1, v3, v1
	ds_bpermute_b32 v3, v17, v1
	;; [unrolled: 3-line block ×4, first 2 shown]
	s_waitcnt lgkmcnt(0)
	v_min_i32_e32 v4, v3, v1
	v_ashrrev_i32_e32 v5, 31, v4
	v_cmp_le_i64_e64 s[0:1], s[2:3], v[4:5]
	s_or_b64 s[8:9], s[0:1], s[8:9]
	s_andn2_b64 exec, exec, s[8:9]
	s_cbranch_execz .LBB0_31
.LBB0_9:                                ; =>This Loop Header: Depth=1
                                        ;     Child Loop BB0_12 Depth 2
                                        ;     Child Loop BB0_22 Depth 2
	v_add_u32_e32 v5, v7, v12
	v_cmp_lt_i32_e32 vcc, v0, v9
	v_mov_b32_e32 v21, v8
	ds_write_b8 v5, v6
	s_waitcnt lgkmcnt(0)
	s_and_saveexec_b64 s[14:15], vcc
	s_cbranch_execz .LBB0_19
; %bb.10:                               ;   in Loop: Header=BB0_9 Depth=1
	s_mov_b64 s[16:17], 0
	v_mov_b32_e32 v21, v8
	s_branch .LBB0_12
.LBB0_11:                               ;   in Loop: Header=BB0_12 Depth=2
	s_or_b64 exec, exec, s[18:19]
	s_and_b64 s[0:1], exec, s[0:1]
	s_or_b64 s[16:17], s[0:1], s[16:17]
	s_andn2_b64 exec, exec, s[16:17]
	s_cbranch_execz .LBB0_18
.LBB0_12:                               ;   Parent Loop BB0_9 Depth=1
                                        ; =>  This Inner Loop Header: Depth=2
	v_ashrrev_i32_e32 v1, 31, v0
	v_lshlrev_b64 v[22:23], 2, v[0:1]
	v_mov_b32_e32 v1, s11
	v_add_co_u32_e32 v22, vcc, s10, v22
	v_addc_co_u32_e32 v23, vcc, v1, v23, vcc
	global_load_dword v1, v[22:23], off
	s_waitcnt vmcnt(0)
	v_subrev_u32_e32 v3, s12, v1
	v_sub_u32_e32 v1, v3, v4
	v_cmp_gt_u32_e32 vcc, 32, v1
	v_cmp_lt_u32_e64 s[0:1], 31, v1
	s_and_saveexec_b64 s[18:19], s[0:1]
	s_xor_b64 s[0:1], exec, s[18:19]
	s_cbranch_execnz .LBB0_15
; %bb.13:                               ;   in Loop: Header=BB0_12 Depth=2
	s_andn2_saveexec_b64 s[0:1], s[0:1]
	s_cbranch_execnz .LBB0_16
.LBB0_14:                               ;   in Loop: Header=BB0_12 Depth=2
	s_or_b64 exec, exec, s[0:1]
	s_mov_b64 s[0:1], -1
	s_and_saveexec_b64 s[18:19], vcc
	s_cbranch_execz .LBB0_11
	s_branch .LBB0_17
.LBB0_15:                               ;   in Loop: Header=BB0_12 Depth=2
	v_min_i32_e32 v21, v3, v21
                                        ; implicit-def: $vgpr1
	s_andn2_saveexec_b64 s[0:1], s[0:1]
	s_cbranch_execz .LBB0_14
.LBB0_16:                               ;   in Loop: Header=BB0_12 Depth=2
	v_add_u32_e32 v1, v7, v1
	ds_write_b8 v1, v20
	s_or_b64 exec, exec, s[0:1]
	s_mov_b64 s[0:1], -1
	s_and_saveexec_b64 s[18:19], vcc
	s_cbranch_execz .LBB0_11
.LBB0_17:                               ;   in Loop: Header=BB0_12 Depth=2
	v_add_u32_e32 v0, 32, v0
	v_cmp_ge_i32_e32 vcc, v0, v9
	s_orn2_b64 s[0:1], vcc, exec
	s_branch .LBB0_11
.LBB0_18:                               ;   in Loop: Header=BB0_9 Depth=1
	s_or_b64 exec, exec, s[16:17]
.LBB0_19:                               ;   in Loop: Header=BB0_9 Depth=1
	s_or_b64 exec, exec, s[14:15]
	v_cmp_lt_i32_e32 vcc, v2, v10
	s_waitcnt lgkmcnt(0)
	s_and_saveexec_b64 s[14:15], vcc
	s_cbranch_execz .LBB0_29
; %bb.20:                               ;   in Loop: Header=BB0_9 Depth=1
	s_mov_b64 s[16:17], 0
	s_branch .LBB0_22
.LBB0_21:                               ;   in Loop: Header=BB0_22 Depth=2
	s_or_b64 exec, exec, s[18:19]
	s_and_b64 s[0:1], exec, s[0:1]
	s_or_b64 s[16:17], s[0:1], s[16:17]
	s_andn2_b64 exec, exec, s[16:17]
	s_cbranch_execz .LBB0_28
.LBB0_22:                               ;   Parent Loop BB0_9 Depth=1
                                        ; =>  This Inner Loop Header: Depth=2
	v_ashrrev_i32_e32 v3, 31, v2
	v_lshlrev_b64 v[22:23], 2, v[2:3]
	v_mov_b32_e32 v1, s7
	v_add_co_u32_e32 v22, vcc, s6, v22
	v_addc_co_u32_e32 v23, vcc, v1, v23, vcc
	global_load_dword v1, v[22:23], off
	s_waitcnt vmcnt(0)
	v_subrev_u32_e32 v3, s13, v1
	v_sub_u32_e32 v1, v3, v4
	v_cmp_gt_u32_e32 vcc, 32, v1
	v_cmp_lt_u32_e64 s[0:1], 31, v1
	s_and_saveexec_b64 s[18:19], s[0:1]
	s_xor_b64 s[0:1], exec, s[18:19]
	s_cbranch_execnz .LBB0_25
; %bb.23:                               ;   in Loop: Header=BB0_22 Depth=2
	s_andn2_saveexec_b64 s[0:1], s[0:1]
	s_cbranch_execnz .LBB0_26
.LBB0_24:                               ;   in Loop: Header=BB0_22 Depth=2
	s_or_b64 exec, exec, s[0:1]
	s_mov_b64 s[0:1], -1
	s_and_saveexec_b64 s[18:19], vcc
	s_cbranch_execz .LBB0_21
	s_branch .LBB0_27
.LBB0_25:                               ;   in Loop: Header=BB0_22 Depth=2
	v_min_i32_e32 v21, v3, v21
                                        ; implicit-def: $vgpr1
	s_andn2_saveexec_b64 s[0:1], s[0:1]
	s_cbranch_execz .LBB0_24
.LBB0_26:                               ;   in Loop: Header=BB0_22 Depth=2
	v_add_u32_e32 v1, v7, v1
	ds_write_b8 v1, v20
	s_or_b64 exec, exec, s[0:1]
	s_mov_b64 s[0:1], -1
	s_and_saveexec_b64 s[18:19], vcc
	s_cbranch_execz .LBB0_21
.LBB0_27:                               ;   in Loop: Header=BB0_22 Depth=2
	v_add_u32_e32 v2, 32, v2
	v_cmp_ge_i32_e32 vcc, v2, v10
	s_orn2_b64 s[0:1], vcc, exec
	s_branch .LBB0_21
.LBB0_28:                               ;   in Loop: Header=BB0_9 Depth=1
	s_or_b64 exec, exec, s[16:17]
.LBB0_29:                               ;   in Loop: Header=BB0_9 Depth=1
	s_or_b64 exec, exec, s[14:15]
	s_waitcnt lgkmcnt(0)
	ds_read_u8 v1, v5
	s_waitcnt lgkmcnt(0)
	v_and_b32_e32 v3, 1, v1
	v_cmp_eq_u32_e64 s[0:1], 1, v3
	v_cmp_ne_u16_e32 vcc, 0, v1
	s_and_saveexec_b64 s[14:15], s[0:1]
	s_cbranch_execz .LBB0_8
; %bb.30:                               ;   in Loop: Header=BB0_9 Depth=1
	v_and_b32_e32 v1, vcc_lo, v13
	v_bcnt_u32_b32 v1, v1, 0
	v_add3_u32 v5, v11, v1, -1
	v_lshlrev_b64 v[22:23], 2, v[5:6]
	v_mov_b32_e32 v1, s5
	v_add_co_u32_e64 v22, s[0:1], s4, v22
	v_addc_co_u32_e64 v23, s[0:1], v1, v23, s[0:1]
	v_add_u32_e32 v1, v14, v4
	global_store_dword v[22:23], v1, off
	s_branch .LBB0_8
.LBB0_31:
	s_endpgm
	.section	.rodata,"a",@progbits
	.p2align	6, 0x0
	.amdhsa_kernel _ZN9rocsparseL38csrgeam_fill_symbolic_multipass_kernelILj256ELj32EiiEEvllPKT1_PKT2_S3_S6_S3_PS4_21rocsparse_index_base_S8_S8_
		.amdhsa_group_segment_fixed_size 256
		.amdhsa_private_segment_fixed_size 0
		.amdhsa_kernarg_size 76
		.amdhsa_user_sgpr_count 6
		.amdhsa_user_sgpr_private_segment_buffer 1
		.amdhsa_user_sgpr_dispatch_ptr 0
		.amdhsa_user_sgpr_queue_ptr 0
		.amdhsa_user_sgpr_kernarg_segment_ptr 1
		.amdhsa_user_sgpr_dispatch_id 0
		.amdhsa_user_sgpr_flat_scratch_init 0
		.amdhsa_user_sgpr_private_segment_size 0
		.amdhsa_uses_dynamic_stack 0
		.amdhsa_system_sgpr_private_segment_wavefront_offset 0
		.amdhsa_system_sgpr_workgroup_id_x 1
		.amdhsa_system_sgpr_workgroup_id_y 0
		.amdhsa_system_sgpr_workgroup_id_z 0
		.amdhsa_system_sgpr_workgroup_info 0
		.amdhsa_system_vgpr_workitem_id 0
		.amdhsa_next_free_vgpr 24
		.amdhsa_next_free_sgpr 20
		.amdhsa_reserve_vcc 1
		.amdhsa_reserve_flat_scratch 0
		.amdhsa_float_round_mode_32 0
		.amdhsa_float_round_mode_16_64 0
		.amdhsa_float_denorm_mode_32 3
		.amdhsa_float_denorm_mode_16_64 3
		.amdhsa_dx10_clamp 1
		.amdhsa_ieee_mode 1
		.amdhsa_fp16_overflow 0
		.amdhsa_exception_fp_ieee_invalid_op 0
		.amdhsa_exception_fp_denorm_src 0
		.amdhsa_exception_fp_ieee_div_zero 0
		.amdhsa_exception_fp_ieee_overflow 0
		.amdhsa_exception_fp_ieee_underflow 0
		.amdhsa_exception_fp_ieee_inexact 0
		.amdhsa_exception_int_div_zero 0
	.end_amdhsa_kernel
	.section	.text._ZN9rocsparseL38csrgeam_fill_symbolic_multipass_kernelILj256ELj32EiiEEvllPKT1_PKT2_S3_S6_S3_PS4_21rocsparse_index_base_S8_S8_,"axG",@progbits,_ZN9rocsparseL38csrgeam_fill_symbolic_multipass_kernelILj256ELj32EiiEEvllPKT1_PKT2_S3_S6_S3_PS4_21rocsparse_index_base_S8_S8_,comdat
.Lfunc_end0:
	.size	_ZN9rocsparseL38csrgeam_fill_symbolic_multipass_kernelILj256ELj32EiiEEvllPKT1_PKT2_S3_S6_S3_PS4_21rocsparse_index_base_S8_S8_, .Lfunc_end0-_ZN9rocsparseL38csrgeam_fill_symbolic_multipass_kernelILj256ELj32EiiEEvllPKT1_PKT2_S3_S6_S3_PS4_21rocsparse_index_base_S8_S8_
                                        ; -- End function
	.set _ZN9rocsparseL38csrgeam_fill_symbolic_multipass_kernelILj256ELj32EiiEEvllPKT1_PKT2_S3_S6_S3_PS4_21rocsparse_index_base_S8_S8_.num_vgpr, 24
	.set _ZN9rocsparseL38csrgeam_fill_symbolic_multipass_kernelILj256ELj32EiiEEvllPKT1_PKT2_S3_S6_S3_PS4_21rocsparse_index_base_S8_S8_.num_agpr, 0
	.set _ZN9rocsparseL38csrgeam_fill_symbolic_multipass_kernelILj256ELj32EiiEEvllPKT1_PKT2_S3_S6_S3_PS4_21rocsparse_index_base_S8_S8_.numbered_sgpr, 20
	.set _ZN9rocsparseL38csrgeam_fill_symbolic_multipass_kernelILj256ELj32EiiEEvllPKT1_PKT2_S3_S6_S3_PS4_21rocsparse_index_base_S8_S8_.num_named_barrier, 0
	.set _ZN9rocsparseL38csrgeam_fill_symbolic_multipass_kernelILj256ELj32EiiEEvllPKT1_PKT2_S3_S6_S3_PS4_21rocsparse_index_base_S8_S8_.private_seg_size, 0
	.set _ZN9rocsparseL38csrgeam_fill_symbolic_multipass_kernelILj256ELj32EiiEEvllPKT1_PKT2_S3_S6_S3_PS4_21rocsparse_index_base_S8_S8_.uses_vcc, 1
	.set _ZN9rocsparseL38csrgeam_fill_symbolic_multipass_kernelILj256ELj32EiiEEvllPKT1_PKT2_S3_S6_S3_PS4_21rocsparse_index_base_S8_S8_.uses_flat_scratch, 0
	.set _ZN9rocsparseL38csrgeam_fill_symbolic_multipass_kernelILj256ELj32EiiEEvllPKT1_PKT2_S3_S6_S3_PS4_21rocsparse_index_base_S8_S8_.has_dyn_sized_stack, 0
	.set _ZN9rocsparseL38csrgeam_fill_symbolic_multipass_kernelILj256ELj32EiiEEvllPKT1_PKT2_S3_S6_S3_PS4_21rocsparse_index_base_S8_S8_.has_recursion, 0
	.set _ZN9rocsparseL38csrgeam_fill_symbolic_multipass_kernelILj256ELj32EiiEEvllPKT1_PKT2_S3_S6_S3_PS4_21rocsparse_index_base_S8_S8_.has_indirect_call, 0
	.section	.AMDGPU.csdata,"",@progbits
; Kernel info:
; codeLenInByte = 1128
; TotalNumSgprs: 24
; NumVgprs: 24
; ScratchSize: 0
; MemoryBound: 0
; FloatMode: 240
; IeeeMode: 1
; LDSByteSize: 256 bytes/workgroup (compile time only)
; SGPRBlocks: 2
; VGPRBlocks: 5
; NumSGPRsForWavesPerEU: 24
; NumVGPRsForWavesPerEU: 24
; Occupancy: 10
; WaveLimiterHint : 1
; COMPUTE_PGM_RSRC2:SCRATCH_EN: 0
; COMPUTE_PGM_RSRC2:USER_SGPR: 6
; COMPUTE_PGM_RSRC2:TRAP_HANDLER: 0
; COMPUTE_PGM_RSRC2:TGID_X_EN: 1
; COMPUTE_PGM_RSRC2:TGID_Y_EN: 0
; COMPUTE_PGM_RSRC2:TGID_Z_EN: 0
; COMPUTE_PGM_RSRC2:TIDIG_COMP_CNT: 0
	.section	.text._ZN9rocsparseL38csrgeam_fill_symbolic_multipass_kernelILj256ELj64EiiEEvllPKT1_PKT2_S3_S6_S3_PS4_21rocsparse_index_base_S8_S8_,"axG",@progbits,_ZN9rocsparseL38csrgeam_fill_symbolic_multipass_kernelILj256ELj64EiiEEvllPKT1_PKT2_S3_S6_S3_PS4_21rocsparse_index_base_S8_S8_,comdat
	.globl	_ZN9rocsparseL38csrgeam_fill_symbolic_multipass_kernelILj256ELj64EiiEEvllPKT1_PKT2_S3_S6_S3_PS4_21rocsparse_index_base_S8_S8_ ; -- Begin function _ZN9rocsparseL38csrgeam_fill_symbolic_multipass_kernelILj256ELj64EiiEEvllPKT1_PKT2_S3_S6_S3_PS4_21rocsparse_index_base_S8_S8_
	.p2align	8
	.type	_ZN9rocsparseL38csrgeam_fill_symbolic_multipass_kernelILj256ELj64EiiEEvllPKT1_PKT2_S3_S6_S3_PS4_21rocsparse_index_base_S8_S8_,@function
_ZN9rocsparseL38csrgeam_fill_symbolic_multipass_kernelILj256ELj64EiiEEvllPKT1_PKT2_S3_S6_S3_PS4_21rocsparse_index_base_S8_S8_: ; @_ZN9rocsparseL38csrgeam_fill_symbolic_multipass_kernelILj256ELj64EiiEEvllPKT1_PKT2_S3_S6_S3_PS4_21rocsparse_index_base_S8_S8_
; %bb.0:
	s_load_dwordx4 s[0:3], s[4:5], 0x0
	s_lshl_b32 s6, s6, 2
	v_lshrrev_b32_e32 v1, 6, v0
	s_and_b32 s6, s6, 0x3fffffc
	v_or_b32_e32 v1, s6, v1
	v_mov_b32_e32 v2, 0
	s_waitcnt lgkmcnt(0)
	v_cmp_gt_i64_e32 vcc, s[0:1], v[1:2]
	s_and_saveexec_b64 s[0:1], vcc
	s_cbranch_execz .LBB1_31
; %bb.1:
	s_load_dwordx4 s[8:11], s[4:5], 0x10
	s_load_dwordx2 s[0:1], s[4:5], 0x20
	s_load_dwordx2 s[6:7], s[4:5], 0x30
	s_load_dwordx4 s[12:15], s[4:5], 0x40
	v_lshlrev_b32_e32 v5, 2, v1
	s_waitcnt lgkmcnt(0)
	global_load_dwordx2 v[3:4], v5, s[8:9]
	global_load_dwordx2 v[1:2], v5, s[0:1]
	global_load_dword v8, v5, s[6:7]
	s_waitcnt vmcnt(2)
	v_cmp_ge_i32_e32 vcc, v3, v4
	s_and_saveexec_b64 s[0:1], vcc
	s_xor_b64 s[0:1], exec, s[0:1]
	s_or_saveexec_b64 s[0:1], s[0:1]
	v_subrev_u32_e32 v5, s12, v3
	v_mov_b32_e32 v3, s2
	s_xor_b64 exec, exec, s[0:1]
	s_cbranch_execz .LBB1_3
; %bb.2:
	v_ashrrev_i32_e32 v6, 31, v5
	v_lshlrev_b64 v[6:7], 2, v[5:6]
	v_mov_b32_e32 v3, s11
	v_add_co_u32_e32 v6, vcc, s10, v6
	v_addc_co_u32_e32 v7, vcc, v3, v7, vcc
	global_load_dword v3, v[6:7], off
	s_waitcnt vmcnt(0)
	v_subrev_u32_e32 v3, s12, v3
.LBB1_3:
	s_or_b64 exec, exec, s[0:1]
	s_load_dwordx2 s[6:7], s[4:5], 0x28
	s_waitcnt vmcnt(1)
	v_cmp_ge_i32_e32 vcc, v1, v2
	v_mov_b32_e32 v10, s2
	s_and_saveexec_b64 s[0:1], vcc
	s_xor_b64 s[0:1], exec, s[0:1]
; %bb.4:
	v_mov_b32_e32 v10, s2
; %bb.5:
	s_or_saveexec_b64 s[0:1], s[0:1]
	s_load_dwordx2 s[4:5], s[4:5], 0x38
	v_subrev_u32_e32 v6, s13, v1
	v_mov_b32_e32 v1, v10
	s_xor_b64 exec, exec, s[0:1]
	s_cbranch_execz .LBB1_7
; %bb.6:
	v_ashrrev_i32_e32 v7, 31, v6
	v_lshlrev_b64 v[11:12], 2, v[6:7]
	s_waitcnt lgkmcnt(0)
	v_mov_b32_e32 v1, s7
	v_add_co_u32_e32 v11, vcc, s6, v11
	v_addc_co_u32_e32 v12, vcc, v1, v12, vcc
	global_load_dword v1, v[11:12], off
	s_waitcnt vmcnt(0)
	v_subrev_u32_e32 v1, s13, v1
.LBB1_7:
	s_or_b64 exec, exec, s[0:1]
	v_subrev_u32_e32 v12, s12, v4
	v_min_i32_e32 v4, v1, v3
	v_mbcnt_lo_u32_b32 v1, -1, 0
	v_mbcnt_hi_u32_b32 v1, -1, v1
	v_and_b32_e32 v3, 64, v1
	s_waitcnt vmcnt(0)
	v_subrev_u32_e32 v14, s14, v8
	v_and_b32_e32 v15, 63, v0
	v_add_u32_e32 v3, 64, v3
	v_xor_b32_e32 v8, 32, v1
	v_and_b32_e32 v11, 0xc0, v0
	v_add_u32_e32 v0, v5, v15
	v_xor_b32_e32 v5, 63, v15
	v_xor_b32_e32 v9, 16, v1
	v_cmp_lt_i32_e32 vcc, v8, v3
	v_subrev_u32_e32 v13, s13, v2
	v_add_u32_e32 v2, v6, v15
	v_xor_b32_e32 v16, 8, v1
	v_lshrrev_b64 v[6:7], v5, -1
	v_cndmask_b32_e32 v5, v1, v8, vcc
	v_cmp_lt_i32_e32 vcc, v9, v3
	v_xor_b32_e32 v17, 4, v1
	v_cndmask_b32_e32 v8, v1, v9, vcc
	v_cmp_lt_i32_e32 vcc, v16, v3
	v_xor_b32_e32 v18, 2, v1
	;; [unrolled: 3-line block ×3, first 2 shown]
	v_cndmask_b32_e32 v20, v1, v17, vcc
	v_cmp_lt_i32_e32 vcc, v18, v3
	v_cndmask_b32_e32 v21, v1, v18, vcc
	v_cmp_lt_i32_e32 vcc, v19, v3
	v_cndmask_b32_e32 v1, v1, v19, vcc
	v_add_u32_e32 v16, s14, v15
	v_lshlrev_b32_e32 v17, 2, v5
	v_lshlrev_b32_e32 v18, 2, v8
	;; [unrolled: 1-line block ×6, first 2 shown]
	s_mov_b64 s[8:9], 0
	v_mov_b32_e32 v23, 1
	v_mov_b32_e32 v9, 0
	s_branch .LBB1_9
.LBB1_8:                                ;   in Loop: Header=BB1_9 Depth=1
	s_or_b64 exec, exec, s[14:15]
	ds_bpermute_b32 v1, v17, v5
	s_bcnt1_i32_b64 s14, vcc
	v_add_u32_e32 v14, s14, v14
	s_waitcnt lgkmcnt(0)
	v_min_i32_e32 v1, v1, v5
	ds_bpermute_b32 v3, v18, v1
	s_waitcnt lgkmcnt(0)
	v_min_i32_e32 v1, v3, v1
	ds_bpermute_b32 v3, v19, v1
	;; [unrolled: 3-line block ×5, first 2 shown]
	s_waitcnt lgkmcnt(0)
	v_min_i32_e32 v4, v3, v1
	v_ashrrev_i32_e32 v5, 31, v4
	v_cmp_le_i64_e64 s[0:1], s[2:3], v[4:5]
	s_or_b64 s[8:9], s[0:1], s[8:9]
	s_andn2_b64 exec, exec, s[8:9]
	s_cbranch_execz .LBB1_31
.LBB1_9:                                ; =>This Loop Header: Depth=1
                                        ;     Child Loop BB1_12 Depth 2
                                        ;     Child Loop BB1_22 Depth 2
	v_add_u32_e32 v8, v11, v15
	v_cmp_lt_i32_e32 vcc, v0, v12
	v_mov_b32_e32 v5, v10
	ds_write_b8 v8, v9
	s_waitcnt lgkmcnt(0)
	s_and_saveexec_b64 s[14:15], vcc
	s_cbranch_execz .LBB1_19
; %bb.10:                               ;   in Loop: Header=BB1_9 Depth=1
	s_mov_b64 s[16:17], 0
	v_mov_b32_e32 v5, v10
	s_branch .LBB1_12
.LBB1_11:                               ;   in Loop: Header=BB1_12 Depth=2
	s_or_b64 exec, exec, s[18:19]
	s_and_b64 s[0:1], exec, s[0:1]
	s_or_b64 s[16:17], s[0:1], s[16:17]
	s_andn2_b64 exec, exec, s[16:17]
	s_cbranch_execz .LBB1_18
.LBB1_12:                               ;   Parent Loop BB1_9 Depth=1
                                        ; =>  This Inner Loop Header: Depth=2
	v_ashrrev_i32_e32 v1, 31, v0
	v_lshlrev_b64 v[24:25], 2, v[0:1]
	v_mov_b32_e32 v1, s11
	v_add_co_u32_e32 v24, vcc, s10, v24
	v_addc_co_u32_e32 v25, vcc, v1, v25, vcc
	global_load_dword v1, v[24:25], off
	s_waitcnt vmcnt(0)
	v_subrev_u32_e32 v3, s12, v1
	v_sub_u32_e32 v1, v3, v4
	v_cmp_gt_u32_e32 vcc, 64, v1
	v_cmp_lt_u32_e64 s[0:1], 63, v1
	s_and_saveexec_b64 s[18:19], s[0:1]
	s_xor_b64 s[0:1], exec, s[18:19]
	s_cbranch_execnz .LBB1_15
; %bb.13:                               ;   in Loop: Header=BB1_12 Depth=2
	s_andn2_saveexec_b64 s[0:1], s[0:1]
	s_cbranch_execnz .LBB1_16
.LBB1_14:                               ;   in Loop: Header=BB1_12 Depth=2
	s_or_b64 exec, exec, s[0:1]
	s_mov_b64 s[0:1], -1
	s_and_saveexec_b64 s[18:19], vcc
	s_cbranch_execz .LBB1_11
	s_branch .LBB1_17
.LBB1_15:                               ;   in Loop: Header=BB1_12 Depth=2
	v_min_i32_e32 v5, v3, v5
                                        ; implicit-def: $vgpr1
	s_andn2_saveexec_b64 s[0:1], s[0:1]
	s_cbranch_execz .LBB1_14
.LBB1_16:                               ;   in Loop: Header=BB1_12 Depth=2
	v_add_u32_e32 v1, v11, v1
	ds_write_b8 v1, v23
	s_or_b64 exec, exec, s[0:1]
	s_mov_b64 s[0:1], -1
	s_and_saveexec_b64 s[18:19], vcc
	s_cbranch_execz .LBB1_11
.LBB1_17:                               ;   in Loop: Header=BB1_12 Depth=2
	v_add_u32_e32 v0, 64, v0
	v_cmp_ge_i32_e32 vcc, v0, v12
	s_orn2_b64 s[0:1], vcc, exec
	s_branch .LBB1_11
.LBB1_18:                               ;   in Loop: Header=BB1_9 Depth=1
	s_or_b64 exec, exec, s[16:17]
.LBB1_19:                               ;   in Loop: Header=BB1_9 Depth=1
	s_or_b64 exec, exec, s[14:15]
	v_cmp_lt_i32_e32 vcc, v2, v13
	s_waitcnt lgkmcnt(0)
	s_and_saveexec_b64 s[14:15], vcc
	s_cbranch_execz .LBB1_29
; %bb.20:                               ;   in Loop: Header=BB1_9 Depth=1
	s_mov_b64 s[16:17], 0
	s_branch .LBB1_22
.LBB1_21:                               ;   in Loop: Header=BB1_22 Depth=2
	s_or_b64 exec, exec, s[18:19]
	s_and_b64 s[0:1], exec, s[0:1]
	s_or_b64 s[16:17], s[0:1], s[16:17]
	s_andn2_b64 exec, exec, s[16:17]
	s_cbranch_execz .LBB1_28
.LBB1_22:                               ;   Parent Loop BB1_9 Depth=1
                                        ; =>  This Inner Loop Header: Depth=2
	v_ashrrev_i32_e32 v3, 31, v2
	v_lshlrev_b64 v[24:25], 2, v[2:3]
	v_mov_b32_e32 v1, s7
	v_add_co_u32_e32 v24, vcc, s6, v24
	v_addc_co_u32_e32 v25, vcc, v1, v25, vcc
	global_load_dword v1, v[24:25], off
	s_waitcnt vmcnt(0)
	v_subrev_u32_e32 v3, s13, v1
	v_sub_u32_e32 v1, v3, v4
	v_cmp_gt_u32_e32 vcc, 64, v1
	v_cmp_lt_u32_e64 s[0:1], 63, v1
	s_and_saveexec_b64 s[18:19], s[0:1]
	s_xor_b64 s[0:1], exec, s[18:19]
	s_cbranch_execnz .LBB1_25
; %bb.23:                               ;   in Loop: Header=BB1_22 Depth=2
	s_andn2_saveexec_b64 s[0:1], s[0:1]
	s_cbranch_execnz .LBB1_26
.LBB1_24:                               ;   in Loop: Header=BB1_22 Depth=2
	s_or_b64 exec, exec, s[0:1]
	s_mov_b64 s[0:1], -1
	s_and_saveexec_b64 s[18:19], vcc
	s_cbranch_execz .LBB1_21
	s_branch .LBB1_27
.LBB1_25:                               ;   in Loop: Header=BB1_22 Depth=2
	v_min_i32_e32 v5, v3, v5
                                        ; implicit-def: $vgpr1
	s_andn2_saveexec_b64 s[0:1], s[0:1]
	s_cbranch_execz .LBB1_24
.LBB1_26:                               ;   in Loop: Header=BB1_22 Depth=2
	v_add_u32_e32 v1, v11, v1
	ds_write_b8 v1, v23
	s_or_b64 exec, exec, s[0:1]
	s_mov_b64 s[0:1], -1
	s_and_saveexec_b64 s[18:19], vcc
	s_cbranch_execz .LBB1_21
.LBB1_27:                               ;   in Loop: Header=BB1_22 Depth=2
	v_add_u32_e32 v2, 64, v2
	v_cmp_ge_i32_e32 vcc, v2, v13
	s_orn2_b64 s[0:1], vcc, exec
	s_branch .LBB1_21
.LBB1_28:                               ;   in Loop: Header=BB1_9 Depth=1
	s_or_b64 exec, exec, s[16:17]
.LBB1_29:                               ;   in Loop: Header=BB1_9 Depth=1
	s_or_b64 exec, exec, s[14:15]
	s_waitcnt lgkmcnt(0)
	ds_read_u8 v1, v8
	s_waitcnt lgkmcnt(0)
	v_and_b32_e32 v3, 1, v1
	v_cmp_eq_u32_e64 s[0:1], 1, v3
	v_cmp_ne_u16_e32 vcc, 0, v1
	s_and_saveexec_b64 s[14:15], s[0:1]
	s_cbranch_execz .LBB1_8
; %bb.30:                               ;   in Loop: Header=BB1_9 Depth=1
	v_and_b32_e32 v3, vcc_lo, v6
	v_and_b32_e32 v1, vcc_hi, v7
	v_bcnt_u32_b32 v3, v3, 0
	v_bcnt_u32_b32 v1, v1, v3
	v_add3_u32 v8, v14, v1, -1
	v_lshlrev_b64 v[24:25], 2, v[8:9]
	v_mov_b32_e32 v1, s5
	v_add_co_u32_e64 v24, s[0:1], s4, v24
	v_addc_co_u32_e64 v25, s[0:1], v1, v25, s[0:1]
	v_add_u32_e32 v1, v16, v4
	global_store_dword v[24:25], v1, off
	s_branch .LBB1_8
.LBB1_31:
	s_endpgm
	.section	.rodata,"a",@progbits
	.p2align	6, 0x0
	.amdhsa_kernel _ZN9rocsparseL38csrgeam_fill_symbolic_multipass_kernelILj256ELj64EiiEEvllPKT1_PKT2_S3_S6_S3_PS4_21rocsparse_index_base_S8_S8_
		.amdhsa_group_segment_fixed_size 256
		.amdhsa_private_segment_fixed_size 0
		.amdhsa_kernarg_size 76
		.amdhsa_user_sgpr_count 6
		.amdhsa_user_sgpr_private_segment_buffer 1
		.amdhsa_user_sgpr_dispatch_ptr 0
		.amdhsa_user_sgpr_queue_ptr 0
		.amdhsa_user_sgpr_kernarg_segment_ptr 1
		.amdhsa_user_sgpr_dispatch_id 0
		.amdhsa_user_sgpr_flat_scratch_init 0
		.amdhsa_user_sgpr_private_segment_size 0
		.amdhsa_uses_dynamic_stack 0
		.amdhsa_system_sgpr_private_segment_wavefront_offset 0
		.amdhsa_system_sgpr_workgroup_id_x 1
		.amdhsa_system_sgpr_workgroup_id_y 0
		.amdhsa_system_sgpr_workgroup_id_z 0
		.amdhsa_system_sgpr_workgroup_info 0
		.amdhsa_system_vgpr_workitem_id 0
		.amdhsa_next_free_vgpr 26
		.amdhsa_next_free_sgpr 20
		.amdhsa_reserve_vcc 1
		.amdhsa_reserve_flat_scratch 0
		.amdhsa_float_round_mode_32 0
		.amdhsa_float_round_mode_16_64 0
		.amdhsa_float_denorm_mode_32 3
		.amdhsa_float_denorm_mode_16_64 3
		.amdhsa_dx10_clamp 1
		.amdhsa_ieee_mode 1
		.amdhsa_fp16_overflow 0
		.amdhsa_exception_fp_ieee_invalid_op 0
		.amdhsa_exception_fp_denorm_src 0
		.amdhsa_exception_fp_ieee_div_zero 0
		.amdhsa_exception_fp_ieee_overflow 0
		.amdhsa_exception_fp_ieee_underflow 0
		.amdhsa_exception_fp_ieee_inexact 0
		.amdhsa_exception_int_div_zero 0
	.end_amdhsa_kernel
	.section	.text._ZN9rocsparseL38csrgeam_fill_symbolic_multipass_kernelILj256ELj64EiiEEvllPKT1_PKT2_S3_S6_S3_PS4_21rocsparse_index_base_S8_S8_,"axG",@progbits,_ZN9rocsparseL38csrgeam_fill_symbolic_multipass_kernelILj256ELj64EiiEEvllPKT1_PKT2_S3_S6_S3_PS4_21rocsparse_index_base_S8_S8_,comdat
.Lfunc_end1:
	.size	_ZN9rocsparseL38csrgeam_fill_symbolic_multipass_kernelILj256ELj64EiiEEvllPKT1_PKT2_S3_S6_S3_PS4_21rocsparse_index_base_S8_S8_, .Lfunc_end1-_ZN9rocsparseL38csrgeam_fill_symbolic_multipass_kernelILj256ELj64EiiEEvllPKT1_PKT2_S3_S6_S3_PS4_21rocsparse_index_base_S8_S8_
                                        ; -- End function
	.set _ZN9rocsparseL38csrgeam_fill_symbolic_multipass_kernelILj256ELj64EiiEEvllPKT1_PKT2_S3_S6_S3_PS4_21rocsparse_index_base_S8_S8_.num_vgpr, 26
	.set _ZN9rocsparseL38csrgeam_fill_symbolic_multipass_kernelILj256ELj64EiiEEvllPKT1_PKT2_S3_S6_S3_PS4_21rocsparse_index_base_S8_S8_.num_agpr, 0
	.set _ZN9rocsparseL38csrgeam_fill_symbolic_multipass_kernelILj256ELj64EiiEEvllPKT1_PKT2_S3_S6_S3_PS4_21rocsparse_index_base_S8_S8_.numbered_sgpr, 20
	.set _ZN9rocsparseL38csrgeam_fill_symbolic_multipass_kernelILj256ELj64EiiEEvllPKT1_PKT2_S3_S6_S3_PS4_21rocsparse_index_base_S8_S8_.num_named_barrier, 0
	.set _ZN9rocsparseL38csrgeam_fill_symbolic_multipass_kernelILj256ELj64EiiEEvllPKT1_PKT2_S3_S6_S3_PS4_21rocsparse_index_base_S8_S8_.private_seg_size, 0
	.set _ZN9rocsparseL38csrgeam_fill_symbolic_multipass_kernelILj256ELj64EiiEEvllPKT1_PKT2_S3_S6_S3_PS4_21rocsparse_index_base_S8_S8_.uses_vcc, 1
	.set _ZN9rocsparseL38csrgeam_fill_symbolic_multipass_kernelILj256ELj64EiiEEvllPKT1_PKT2_S3_S6_S3_PS4_21rocsparse_index_base_S8_S8_.uses_flat_scratch, 0
	.set _ZN9rocsparseL38csrgeam_fill_symbolic_multipass_kernelILj256ELj64EiiEEvllPKT1_PKT2_S3_S6_S3_PS4_21rocsparse_index_base_S8_S8_.has_dyn_sized_stack, 0
	.set _ZN9rocsparseL38csrgeam_fill_symbolic_multipass_kernelILj256ELj64EiiEEvllPKT1_PKT2_S3_S6_S3_PS4_21rocsparse_index_base_S8_S8_.has_recursion, 0
	.set _ZN9rocsparseL38csrgeam_fill_symbolic_multipass_kernelILj256ELj64EiiEEvllPKT1_PKT2_S3_S6_S3_PS4_21rocsparse_index_base_S8_S8_.has_indirect_call, 0
	.section	.AMDGPU.csdata,"",@progbits
; Kernel info:
; codeLenInByte = 1172
; TotalNumSgprs: 24
; NumVgprs: 26
; ScratchSize: 0
; MemoryBound: 0
; FloatMode: 240
; IeeeMode: 1
; LDSByteSize: 256 bytes/workgroup (compile time only)
; SGPRBlocks: 2
; VGPRBlocks: 6
; NumSGPRsForWavesPerEU: 24
; NumVGPRsForWavesPerEU: 26
; Occupancy: 9
; WaveLimiterHint : 1
; COMPUTE_PGM_RSRC2:SCRATCH_EN: 0
; COMPUTE_PGM_RSRC2:USER_SGPR: 6
; COMPUTE_PGM_RSRC2:TRAP_HANDLER: 0
; COMPUTE_PGM_RSRC2:TGID_X_EN: 1
; COMPUTE_PGM_RSRC2:TGID_Y_EN: 0
; COMPUTE_PGM_RSRC2:TGID_Z_EN: 0
; COMPUTE_PGM_RSRC2:TIDIG_COMP_CNT: 0
	.section	.text._ZN9rocsparseL38csrgeam_fill_symbolic_multipass_kernelILj256ELj32EliEEvllPKT1_PKT2_S3_S6_S3_PS4_21rocsparse_index_base_S8_S8_,"axG",@progbits,_ZN9rocsparseL38csrgeam_fill_symbolic_multipass_kernelILj256ELj32EliEEvllPKT1_PKT2_S3_S6_S3_PS4_21rocsparse_index_base_S8_S8_,comdat
	.globl	_ZN9rocsparseL38csrgeam_fill_symbolic_multipass_kernelILj256ELj32EliEEvllPKT1_PKT2_S3_S6_S3_PS4_21rocsparse_index_base_S8_S8_ ; -- Begin function _ZN9rocsparseL38csrgeam_fill_symbolic_multipass_kernelILj256ELj32EliEEvllPKT1_PKT2_S3_S6_S3_PS4_21rocsparse_index_base_S8_S8_
	.p2align	8
	.type	_ZN9rocsparseL38csrgeam_fill_symbolic_multipass_kernelILj256ELj32EliEEvllPKT1_PKT2_S3_S6_S3_PS4_21rocsparse_index_base_S8_S8_,@function
_ZN9rocsparseL38csrgeam_fill_symbolic_multipass_kernelILj256ELj32EliEEvllPKT1_PKT2_S3_S6_S3_PS4_21rocsparse_index_base_S8_S8_: ; @_ZN9rocsparseL38csrgeam_fill_symbolic_multipass_kernelILj256ELj32EliEEvllPKT1_PKT2_S3_S6_S3_PS4_21rocsparse_index_base_S8_S8_
; %bb.0:
	s_load_dwordx4 s[8:11], s[4:5], 0x0
	s_lshl_b32 s0, s6, 3
	v_lshrrev_b32_e32 v1, 5, v0
	s_and_b32 s0, s0, 0x7fffff8
	v_or_b32_e32 v1, s0, v1
	v_mov_b32_e32 v2, 0
	s_waitcnt lgkmcnt(0)
	v_cmp_gt_i64_e32 vcc, s[8:9], v[1:2]
	s_and_saveexec_b64 s[0:1], vcc
	s_cbranch_execz .LBB2_31
; %bb.1:
	s_load_dwordx4 s[12:15], s[4:5], 0x10
	s_load_dwordx2 s[0:1], s[4:5], 0x20
	v_lshlrev_b32_e32 v9, 3, v1
	s_waitcnt lgkmcnt(0)
	global_load_dwordx4 v[1:4], v9, s[12:13]
	s_load_dwordx2 s[2:3], s[4:5], 0x30
	s_load_dwordx4 s[16:19], s[4:5], 0x40
	global_load_dwordx4 v[5:8], v9, s[0:1]
	s_waitcnt lgkmcnt(0)
	global_load_dwordx2 v[11:12], v9, s[2:3]
	s_waitcnt vmcnt(2)
	v_cmp_ge_i64_e32 vcc, v[1:2], v[3:4]
	v_subrev_co_u32_e64 v9, s[0:1], s16, v1
	v_subbrev_co_u32_e64 v10, s[0:1], 0, v2, s[0:1]
	s_and_saveexec_b64 s[0:1], vcc
	s_xor_b64 s[0:1], exec, s[0:1]
	s_or_saveexec_b64 s[0:1], s[0:1]
	v_mov_b32_e32 v17, s10
	s_xor_b64 exec, exec, s[0:1]
	s_cbranch_execz .LBB2_3
; %bb.2:
	v_lshlrev_b64 v[1:2], 2, v[9:10]
	v_mov_b32_e32 v13, s15
	v_add_co_u32_e32 v1, vcc, s14, v1
	v_addc_co_u32_e32 v2, vcc, v13, v2, vcc
	global_load_dword v1, v[1:2], off
	s_waitcnt vmcnt(0)
	v_subrev_u32_e32 v17, s16, v1
.LBB2_3:
	s_or_b64 exec, exec, s[0:1]
	s_load_dwordx2 s[8:9], s[4:5], 0x28
	s_waitcnt vmcnt(1)
	v_subrev_co_u32_e32 v13, vcc, s17, v5
	v_subbrev_co_u32_e32 v14, vcc, 0, v6, vcc
	v_cmp_ge_i64_e32 vcc, v[5:6], v[7:8]
	s_mov_b32 s2, s17
	v_mov_b32_e32 v15, s10
	s_and_saveexec_b64 s[0:1], vcc
	s_xor_b64 s[0:1], exec, s[0:1]
; %bb.4:
	v_mov_b32_e32 v15, s10
; %bb.5:
	s_or_saveexec_b64 s[0:1], s[0:1]
	s_load_dwordx2 s[12:13], s[4:5], 0x38
	v_mov_b32_e32 v18, v15
	s_xor_b64 exec, exec, s[0:1]
	s_cbranch_execz .LBB2_7
; %bb.6:
	v_lshlrev_b64 v[1:2], 2, v[13:14]
	s_waitcnt lgkmcnt(0)
	v_mov_b32_e32 v5, s9
	v_add_co_u32_e32 v1, vcc, s8, v1
	v_addc_co_u32_e32 v2, vcc, v5, v2, vcc
	global_load_dword v1, v[1:2], off
	s_waitcnt vmcnt(0)
	v_subrev_u32_e32 v18, s17, v1
.LBB2_7:
	s_or_b64 exec, exec, s[0:1]
	v_subrev_co_u32_e32 v1, vcc, s16, v3
	v_subbrev_co_u32_e32 v2, vcc, 0, v4, vcc
	v_subrev_co_u32_e32 v3, vcc, s2, v7
	v_subbrev_co_u32_e32 v4, vcc, 0, v8, vcc
	s_waitcnt vmcnt(0)
	v_subrev_co_u32_e32 v5, vcc, s18, v11
	v_subbrev_co_u32_e32 v6, vcc, 0, v12, vcc
	v_and_b32_e32 v16, 31, v0
	v_add_co_u32_e32 v7, vcc, v9, v16
	v_mbcnt_lo_u32_b32 v11, -1, 0
	v_addc_co_u32_e32 v8, vcc, 0, v10, vcc
	v_mbcnt_hi_u32_b32 v12, -1, v11
	v_add_co_u32_e32 v9, vcc, v13, v16
	v_and_b32_e32 v11, 64, v12
	v_addc_co_u32_e32 v10, vcc, 0, v14, vcc
	v_add_u32_e32 v11, 64, v11
	v_xor_b32_e32 v13, 16, v12
	v_xor_b32_e32 v14, 8, v12
	;; [unrolled: 1-line block ×5, first 2 shown]
	v_cmp_lt_i32_e32 vcc, v13, v11
	v_cmp_lt_i32_e64 s[0:1], v14, v11
	v_cmp_lt_i32_e64 s[2:3], v19, v11
	;; [unrolled: 1-line block ×4, first 2 shown]
	v_min_i32_e32 v11, v18, v17
	v_cndmask_b32_e32 v13, v12, v13, vcc
	v_cndmask_b32_e64 v18, v12, v14, s[0:1]
	v_cndmask_b32_e64 v19, v12, v19, s[2:3]
	;; [unrolled: 1-line block ×4, first 2 shown]
	v_xor_b32_e32 v14, 31, v16
	v_and_b32_e32 v0, 0xe0, v0
	v_lshrrev_b32_e64 v14, v14, -1
	v_lshlrev_b32_e32 v17, 2, v13
	v_lshlrev_b32_e32 v18, 2, v18
	;; [unrolled: 1-line block ×5, first 2 shown]
	s_mov_b64 s[2:3], 0
	v_add_u32_e32 v22, s18, v16
	v_mov_b32_e32 v23, 1
	s_branch .LBB2_9
.LBB2_8:                                ;   in Loop: Header=BB2_9 Depth=1
	s_or_b64 exec, exec, s[4:5]
	ds_bpermute_b32 v11, v17, v24
	s_bcnt1_i32_b64 s4, vcc
	v_add_co_u32_e32 v5, vcc, s4, v5
	v_addc_co_u32_e32 v6, vcc, 0, v6, vcc
	s_waitcnt lgkmcnt(0)
	v_min_i32_e32 v11, v11, v24
	ds_bpermute_b32 v12, v18, v11
	s_waitcnt lgkmcnt(0)
	v_min_i32_e32 v11, v12, v11
	ds_bpermute_b32 v12, v19, v11
	;; [unrolled: 3-line block ×4, first 2 shown]
	s_waitcnt lgkmcnt(0)
	v_min_i32_e32 v11, v12, v11
	v_ashrrev_i32_e32 v12, 31, v11
	v_cmp_le_i64_e64 s[0:1], s[10:11], v[11:12]
	s_or_b64 s[2:3], s[0:1], s[2:3]
	s_andn2_b64 exec, exec, s[2:3]
	s_cbranch_execz .LBB2_31
.LBB2_9:                                ; =>This Loop Header: Depth=1
                                        ;     Child Loop BB2_12 Depth 2
                                        ;     Child Loop BB2_22 Depth 2
	v_cmp_lt_i64_e32 vcc, v[7:8], v[1:2]
	v_add_u32_e32 v25, v0, v16
	v_mov_b32_e32 v12, 0
	v_mov_b32_e32 v24, v15
	ds_write_b8 v25, v12
	s_waitcnt lgkmcnt(0)
	s_and_saveexec_b64 s[4:5], vcc
	s_cbranch_execz .LBB2_19
; %bb.10:                               ;   in Loop: Header=BB2_9 Depth=1
	v_lshlrev_b64 v[12:13], 2, v[7:8]
	v_mov_b32_e32 v24, s15
	v_add_co_u32_e32 v12, vcc, s14, v12
	v_addc_co_u32_e32 v13, vcc, v24, v13, vcc
	s_mov_b64 s[6:7], 0
	v_mov_b32_e32 v24, v15
	s_branch .LBB2_12
.LBB2_11:                               ;   in Loop: Header=BB2_12 Depth=2
	s_or_b64 exec, exec, s[18:19]
	s_and_b64 s[0:1], exec, s[0:1]
	s_or_b64 s[6:7], s[0:1], s[6:7]
	s_andn2_b64 exec, exec, s[6:7]
	s_cbranch_execz .LBB2_18
.LBB2_12:                               ;   Parent Loop BB2_9 Depth=1
                                        ; =>  This Inner Loop Header: Depth=2
	global_load_dword v26, v[12:13], off
	s_waitcnt vmcnt(0)
	v_subrev_u32_e32 v27, s16, v26
	v_sub_u32_e32 v26, v27, v11
	v_cmp_gt_u32_e32 vcc, 32, v26
	v_cmp_lt_u32_e64 s[0:1], 31, v26
	s_and_saveexec_b64 s[18:19], s[0:1]
	s_xor_b64 s[0:1], exec, s[18:19]
	s_cbranch_execnz .LBB2_15
; %bb.13:                               ;   in Loop: Header=BB2_12 Depth=2
	s_andn2_saveexec_b64 s[0:1], s[0:1]
	s_cbranch_execnz .LBB2_16
.LBB2_14:                               ;   in Loop: Header=BB2_12 Depth=2
	s_or_b64 exec, exec, s[0:1]
	s_mov_b64 s[0:1], -1
	s_and_saveexec_b64 s[18:19], vcc
	s_cbranch_execz .LBB2_11
	s_branch .LBB2_17
.LBB2_15:                               ;   in Loop: Header=BB2_12 Depth=2
	v_min_i32_e32 v24, v27, v24
                                        ; implicit-def: $vgpr26
	s_andn2_saveexec_b64 s[0:1], s[0:1]
	s_cbranch_execz .LBB2_14
.LBB2_16:                               ;   in Loop: Header=BB2_12 Depth=2
	v_add_u32_e32 v26, v0, v26
	ds_write_b8 v26, v23
	s_or_b64 exec, exec, s[0:1]
	s_mov_b64 s[0:1], -1
	s_and_saveexec_b64 s[18:19], vcc
	s_cbranch_execz .LBB2_11
.LBB2_17:                               ;   in Loop: Header=BB2_12 Depth=2
	v_add_co_u32_e32 v7, vcc, 32, v7
	v_addc_co_u32_e32 v8, vcc, 0, v8, vcc
	v_cmp_ge_i64_e64 s[0:1], v[7:8], v[1:2]
	v_add_co_u32_e32 v12, vcc, 0x80, v12
	v_addc_co_u32_e32 v13, vcc, 0, v13, vcc
	s_orn2_b64 s[0:1], s[0:1], exec
	s_branch .LBB2_11
.LBB2_18:                               ;   in Loop: Header=BB2_9 Depth=1
	s_or_b64 exec, exec, s[6:7]
.LBB2_19:                               ;   in Loop: Header=BB2_9 Depth=1
	s_or_b64 exec, exec, s[4:5]
	v_cmp_lt_i64_e32 vcc, v[9:10], v[3:4]
	s_waitcnt lgkmcnt(0)
	s_and_saveexec_b64 s[4:5], vcc
	s_cbranch_execz .LBB2_29
; %bb.20:                               ;   in Loop: Header=BB2_9 Depth=1
	v_lshlrev_b64 v[12:13], 2, v[9:10]
	v_mov_b32_e32 v26, s9
	v_add_co_u32_e32 v12, vcc, s8, v12
	v_addc_co_u32_e32 v13, vcc, v26, v13, vcc
	s_mov_b64 s[6:7], 0
	s_branch .LBB2_22
.LBB2_21:                               ;   in Loop: Header=BB2_22 Depth=2
	s_or_b64 exec, exec, s[18:19]
	s_and_b64 s[0:1], exec, s[0:1]
	s_or_b64 s[6:7], s[0:1], s[6:7]
	s_andn2_b64 exec, exec, s[6:7]
	s_cbranch_execz .LBB2_28
.LBB2_22:                               ;   Parent Loop BB2_9 Depth=1
                                        ; =>  This Inner Loop Header: Depth=2
	global_load_dword v26, v[12:13], off
	s_waitcnt vmcnt(0)
	v_subrev_u32_e32 v27, s17, v26
	v_sub_u32_e32 v26, v27, v11
	v_cmp_gt_u32_e32 vcc, 32, v26
	v_cmp_lt_u32_e64 s[0:1], 31, v26
	s_and_saveexec_b64 s[18:19], s[0:1]
	s_xor_b64 s[0:1], exec, s[18:19]
	s_cbranch_execnz .LBB2_25
; %bb.23:                               ;   in Loop: Header=BB2_22 Depth=2
	s_andn2_saveexec_b64 s[0:1], s[0:1]
	s_cbranch_execnz .LBB2_26
.LBB2_24:                               ;   in Loop: Header=BB2_22 Depth=2
	s_or_b64 exec, exec, s[0:1]
	s_mov_b64 s[0:1], -1
	s_and_saveexec_b64 s[18:19], vcc
	s_cbranch_execz .LBB2_21
	s_branch .LBB2_27
.LBB2_25:                               ;   in Loop: Header=BB2_22 Depth=2
	v_min_i32_e32 v24, v27, v24
                                        ; implicit-def: $vgpr26
	s_andn2_saveexec_b64 s[0:1], s[0:1]
	s_cbranch_execz .LBB2_24
.LBB2_26:                               ;   in Loop: Header=BB2_22 Depth=2
	v_add_u32_e32 v26, v0, v26
	ds_write_b8 v26, v23
	s_or_b64 exec, exec, s[0:1]
	s_mov_b64 s[0:1], -1
	s_and_saveexec_b64 s[18:19], vcc
	s_cbranch_execz .LBB2_21
.LBB2_27:                               ;   in Loop: Header=BB2_22 Depth=2
	v_add_co_u32_e32 v9, vcc, 32, v9
	v_addc_co_u32_e32 v10, vcc, 0, v10, vcc
	v_cmp_ge_i64_e64 s[0:1], v[9:10], v[3:4]
	v_add_co_u32_e32 v12, vcc, 0x80, v12
	v_addc_co_u32_e32 v13, vcc, 0, v13, vcc
	s_orn2_b64 s[0:1], s[0:1], exec
	s_branch .LBB2_21
.LBB2_28:                               ;   in Loop: Header=BB2_9 Depth=1
	s_or_b64 exec, exec, s[6:7]
.LBB2_29:                               ;   in Loop: Header=BB2_9 Depth=1
	s_or_b64 exec, exec, s[4:5]
	s_waitcnt lgkmcnt(0)
	ds_read_u8 v12, v25
	s_waitcnt lgkmcnt(0)
	v_and_b32_e32 v13, 1, v12
	v_cmp_eq_u32_e64 s[0:1], 1, v13
	v_cmp_ne_u16_e32 vcc, 0, v12
	s_and_saveexec_b64 s[4:5], s[0:1]
	s_cbranch_execz .LBB2_8
; %bb.30:                               ;   in Loop: Header=BB2_9 Depth=1
	v_lshlrev_b64 v[12:13], 2, v[5:6]
	v_mov_b32_e32 v25, s13
	v_add_co_u32_e64 v12, s[0:1], s12, v12
	v_addc_co_u32_e64 v13, s[0:1], v25, v13, s[0:1]
	v_and_b32_e32 v25, vcc_lo, v14
	v_bcnt_u32_b32 v25, v25, 0
	v_lshlrev_b32_e32 v25, 2, v25
	v_add_co_u32_e64 v12, s[0:1], v12, v25
	v_addc_co_u32_e64 v13, s[0:1], 0, v13, s[0:1]
	v_add_u32_e32 v11, v22, v11
	global_store_dword v[12:13], v11, off offset:-4
	s_branch .LBB2_8
.LBB2_31:
	s_endpgm
	.section	.rodata,"a",@progbits
	.p2align	6, 0x0
	.amdhsa_kernel _ZN9rocsparseL38csrgeam_fill_symbolic_multipass_kernelILj256ELj32EliEEvllPKT1_PKT2_S3_S6_S3_PS4_21rocsparse_index_base_S8_S8_
		.amdhsa_group_segment_fixed_size 256
		.amdhsa_private_segment_fixed_size 0
		.amdhsa_kernarg_size 76
		.amdhsa_user_sgpr_count 6
		.amdhsa_user_sgpr_private_segment_buffer 1
		.amdhsa_user_sgpr_dispatch_ptr 0
		.amdhsa_user_sgpr_queue_ptr 0
		.amdhsa_user_sgpr_kernarg_segment_ptr 1
		.amdhsa_user_sgpr_dispatch_id 0
		.amdhsa_user_sgpr_flat_scratch_init 0
		.amdhsa_user_sgpr_private_segment_size 0
		.amdhsa_uses_dynamic_stack 0
		.amdhsa_system_sgpr_private_segment_wavefront_offset 0
		.amdhsa_system_sgpr_workgroup_id_x 1
		.amdhsa_system_sgpr_workgroup_id_y 0
		.amdhsa_system_sgpr_workgroup_id_z 0
		.amdhsa_system_sgpr_workgroup_info 0
		.amdhsa_system_vgpr_workitem_id 0
		.amdhsa_next_free_vgpr 28
		.amdhsa_next_free_sgpr 20
		.amdhsa_reserve_vcc 1
		.amdhsa_reserve_flat_scratch 0
		.amdhsa_float_round_mode_32 0
		.amdhsa_float_round_mode_16_64 0
		.amdhsa_float_denorm_mode_32 3
		.amdhsa_float_denorm_mode_16_64 3
		.amdhsa_dx10_clamp 1
		.amdhsa_ieee_mode 1
		.amdhsa_fp16_overflow 0
		.amdhsa_exception_fp_ieee_invalid_op 0
		.amdhsa_exception_fp_denorm_src 0
		.amdhsa_exception_fp_ieee_div_zero 0
		.amdhsa_exception_fp_ieee_overflow 0
		.amdhsa_exception_fp_ieee_underflow 0
		.amdhsa_exception_fp_ieee_inexact 0
		.amdhsa_exception_int_div_zero 0
	.end_amdhsa_kernel
	.section	.text._ZN9rocsparseL38csrgeam_fill_symbolic_multipass_kernelILj256ELj32EliEEvllPKT1_PKT2_S3_S6_S3_PS4_21rocsparse_index_base_S8_S8_,"axG",@progbits,_ZN9rocsparseL38csrgeam_fill_symbolic_multipass_kernelILj256ELj32EliEEvllPKT1_PKT2_S3_S6_S3_PS4_21rocsparse_index_base_S8_S8_,comdat
.Lfunc_end2:
	.size	_ZN9rocsparseL38csrgeam_fill_symbolic_multipass_kernelILj256ELj32EliEEvllPKT1_PKT2_S3_S6_S3_PS4_21rocsparse_index_base_S8_S8_, .Lfunc_end2-_ZN9rocsparseL38csrgeam_fill_symbolic_multipass_kernelILj256ELj32EliEEvllPKT1_PKT2_S3_S6_S3_PS4_21rocsparse_index_base_S8_S8_
                                        ; -- End function
	.set _ZN9rocsparseL38csrgeam_fill_symbolic_multipass_kernelILj256ELj32EliEEvllPKT1_PKT2_S3_S6_S3_PS4_21rocsparse_index_base_S8_S8_.num_vgpr, 28
	.set _ZN9rocsparseL38csrgeam_fill_symbolic_multipass_kernelILj256ELj32EliEEvllPKT1_PKT2_S3_S6_S3_PS4_21rocsparse_index_base_S8_S8_.num_agpr, 0
	.set _ZN9rocsparseL38csrgeam_fill_symbolic_multipass_kernelILj256ELj32EliEEvllPKT1_PKT2_S3_S6_S3_PS4_21rocsparse_index_base_S8_S8_.numbered_sgpr, 20
	.set _ZN9rocsparseL38csrgeam_fill_symbolic_multipass_kernelILj256ELj32EliEEvllPKT1_PKT2_S3_S6_S3_PS4_21rocsparse_index_base_S8_S8_.num_named_barrier, 0
	.set _ZN9rocsparseL38csrgeam_fill_symbolic_multipass_kernelILj256ELj32EliEEvllPKT1_PKT2_S3_S6_S3_PS4_21rocsparse_index_base_S8_S8_.private_seg_size, 0
	.set _ZN9rocsparseL38csrgeam_fill_symbolic_multipass_kernelILj256ELj32EliEEvllPKT1_PKT2_S3_S6_S3_PS4_21rocsparse_index_base_S8_S8_.uses_vcc, 1
	.set _ZN9rocsparseL38csrgeam_fill_symbolic_multipass_kernelILj256ELj32EliEEvllPKT1_PKT2_S3_S6_S3_PS4_21rocsparse_index_base_S8_S8_.uses_flat_scratch, 0
	.set _ZN9rocsparseL38csrgeam_fill_symbolic_multipass_kernelILj256ELj32EliEEvllPKT1_PKT2_S3_S6_S3_PS4_21rocsparse_index_base_S8_S8_.has_dyn_sized_stack, 0
	.set _ZN9rocsparseL38csrgeam_fill_symbolic_multipass_kernelILj256ELj32EliEEvllPKT1_PKT2_S3_S6_S3_PS4_21rocsparse_index_base_S8_S8_.has_recursion, 0
	.set _ZN9rocsparseL38csrgeam_fill_symbolic_multipass_kernelILj256ELj32EliEEvllPKT1_PKT2_S3_S6_S3_PS4_21rocsparse_index_base_S8_S8_.has_indirect_call, 0
	.section	.AMDGPU.csdata,"",@progbits
; Kernel info:
; codeLenInByte = 1244
; TotalNumSgprs: 24
; NumVgprs: 28
; ScratchSize: 0
; MemoryBound: 0
; FloatMode: 240
; IeeeMode: 1
; LDSByteSize: 256 bytes/workgroup (compile time only)
; SGPRBlocks: 2
; VGPRBlocks: 6
; NumSGPRsForWavesPerEU: 24
; NumVGPRsForWavesPerEU: 28
; Occupancy: 9
; WaveLimiterHint : 1
; COMPUTE_PGM_RSRC2:SCRATCH_EN: 0
; COMPUTE_PGM_RSRC2:USER_SGPR: 6
; COMPUTE_PGM_RSRC2:TRAP_HANDLER: 0
; COMPUTE_PGM_RSRC2:TGID_X_EN: 1
; COMPUTE_PGM_RSRC2:TGID_Y_EN: 0
; COMPUTE_PGM_RSRC2:TGID_Z_EN: 0
; COMPUTE_PGM_RSRC2:TIDIG_COMP_CNT: 0
	.section	.text._ZN9rocsparseL38csrgeam_fill_symbolic_multipass_kernelILj256ELj64EliEEvllPKT1_PKT2_S3_S6_S3_PS4_21rocsparse_index_base_S8_S8_,"axG",@progbits,_ZN9rocsparseL38csrgeam_fill_symbolic_multipass_kernelILj256ELj64EliEEvllPKT1_PKT2_S3_S6_S3_PS4_21rocsparse_index_base_S8_S8_,comdat
	.globl	_ZN9rocsparseL38csrgeam_fill_symbolic_multipass_kernelILj256ELj64EliEEvllPKT1_PKT2_S3_S6_S3_PS4_21rocsparse_index_base_S8_S8_ ; -- Begin function _ZN9rocsparseL38csrgeam_fill_symbolic_multipass_kernelILj256ELj64EliEEvllPKT1_PKT2_S3_S6_S3_PS4_21rocsparse_index_base_S8_S8_
	.p2align	8
	.type	_ZN9rocsparseL38csrgeam_fill_symbolic_multipass_kernelILj256ELj64EliEEvllPKT1_PKT2_S3_S6_S3_PS4_21rocsparse_index_base_S8_S8_,@function
_ZN9rocsparseL38csrgeam_fill_symbolic_multipass_kernelILj256ELj64EliEEvllPKT1_PKT2_S3_S6_S3_PS4_21rocsparse_index_base_S8_S8_: ; @_ZN9rocsparseL38csrgeam_fill_symbolic_multipass_kernelILj256ELj64EliEEvllPKT1_PKT2_S3_S6_S3_PS4_21rocsparse_index_base_S8_S8_
; %bb.0:
	s_load_dwordx4 s[0:3], s[4:5], 0x0
	s_lshl_b32 s6, s6, 2
	v_lshrrev_b32_e32 v1, 6, v0
	s_and_b32 s6, s6, 0x3fffffc
	v_or_b32_e32 v1, s6, v1
	v_mov_b32_e32 v2, 0
	s_waitcnt lgkmcnt(0)
	v_cmp_gt_i64_e32 vcc, s[0:1], v[1:2]
	s_and_saveexec_b64 s[0:1], vcc
	s_cbranch_execz .LBB3_31
; %bb.1:
	s_load_dwordx4 s[8:11], s[4:5], 0x10
	s_load_dwordx2 s[0:1], s[4:5], 0x20
	v_lshlrev_b32_e32 v9, 3, v1
	s_waitcnt lgkmcnt(0)
	global_load_dwordx4 v[1:4], v9, s[8:9]
	s_load_dwordx2 s[6:7], s[4:5], 0x30
	s_load_dwordx4 s[12:15], s[4:5], 0x40
	global_load_dwordx4 v[5:8], v9, s[0:1]
	s_waitcnt lgkmcnt(0)
	global_load_dwordx2 v[11:12], v9, s[6:7]
	s_waitcnt vmcnt(2)
	v_cmp_ge_i64_e32 vcc, v[1:2], v[3:4]
	v_subrev_co_u32_e64 v9, s[0:1], s12, v1
	v_subbrev_co_u32_e64 v10, s[0:1], 0, v2, s[0:1]
	s_and_saveexec_b64 s[0:1], vcc
	s_xor_b64 s[0:1], exec, s[0:1]
	s_or_saveexec_b64 s[0:1], s[0:1]
	v_mov_b32_e32 v15, s2
	s_xor_b64 exec, exec, s[0:1]
	s_cbranch_execz .LBB3_3
; %bb.2:
	v_lshlrev_b64 v[1:2], 2, v[9:10]
	v_mov_b32_e32 v13, s11
	v_add_co_u32_e32 v1, vcc, s10, v1
	v_addc_co_u32_e32 v2, vcc, v13, v2, vcc
	global_load_dword v1, v[1:2], off
	s_waitcnt vmcnt(0)
	v_subrev_u32_e32 v15, s12, v1
.LBB3_3:
	s_or_b64 exec, exec, s[0:1]
	s_load_dwordx2 s[6:7], s[4:5], 0x28
	s_waitcnt vmcnt(1)
	v_subrev_co_u32_e32 v13, vcc, s13, v5
	v_subbrev_co_u32_e32 v14, vcc, 0, v6, vcc
	v_cmp_ge_i64_e32 vcc, v[5:6], v[7:8]
	s_mov_b32 s8, s13
	v_mov_b32_e32 v16, s2
	s_and_saveexec_b64 s[0:1], vcc
	s_xor_b64 s[0:1], exec, s[0:1]
; %bb.4:
	v_mov_b32_e32 v16, s2
; %bb.5:
	s_or_saveexec_b64 s[0:1], s[0:1]
	s_load_dwordx2 s[4:5], s[4:5], 0x38
	v_mov_b32_e32 v18, v16
	s_xor_b64 exec, exec, s[0:1]
	s_cbranch_execz .LBB3_7
; %bb.6:
	v_lshlrev_b64 v[1:2], 2, v[13:14]
	s_waitcnt lgkmcnt(0)
	v_mov_b32_e32 v5, s7
	v_add_co_u32_e32 v1, vcc, s6, v1
	v_addc_co_u32_e32 v2, vcc, v5, v2, vcc
	global_load_dword v1, v[1:2], off
	s_waitcnt vmcnt(0)
	v_subrev_u32_e32 v18, s13, v1
.LBB3_7:
	s_or_b64 exec, exec, s[0:1]
	v_subrev_co_u32_e32 v1, vcc, s12, v3
	v_subbrev_co_u32_e32 v2, vcc, 0, v4, vcc
	v_subrev_co_u32_e32 v3, vcc, s8, v7
	v_subbrev_co_u32_e32 v4, vcc, 0, v8, vcc
	s_waitcnt vmcnt(0)
	v_subrev_co_u32_e32 v5, vcc, s14, v11
	v_subbrev_co_u32_e32 v6, vcc, 0, v12, vcc
	v_and_b32_e32 v17, 63, v0
	v_add_co_u32_e32 v7, vcc, v9, v17
	v_mbcnt_lo_u32_b32 v11, -1, 0
	v_addc_co_u32_e32 v8, vcc, 0, v10, vcc
	v_mbcnt_hi_u32_b32 v11, -1, v11
	v_add_co_u32_e32 v9, vcc, v13, v17
	v_and_b32_e32 v12, 64, v11
	v_addc_co_u32_e32 v10, vcc, 0, v14, vcc
	v_add_u32_e32 v12, 64, v12
	v_xor_b32_e32 v22, 32, v11
	v_xor_b32_e32 v13, 16, v11
	v_cmp_lt_i32_e32 vcc, v22, v12
	v_xor_b32_e32 v14, 8, v11
	v_cndmask_b32_e32 v22, v11, v22, vcc
	v_cmp_lt_i32_e32 vcc, v13, v12
	v_xor_b32_e32 v19, 4, v11
	v_cndmask_b32_e32 v23, v11, v13, vcc
	;; [unrolled: 3-line block ×4, first 2 shown]
	v_cmp_lt_i32_e32 vcc, v20, v12
	v_cndmask_b32_e32 v25, v11, v20, vcc
	v_cmp_lt_i32_e32 vcc, v21, v12
	v_cndmask_b32_e32 v11, v11, v21, vcc
	v_lshlrev_b32_e32 v19, 2, v23
	v_lshlrev_b32_e32 v23, 2, v11
	v_xor_b32_e32 v11, 63, v17
	v_lshrrev_b64 v[11:12], v11, -1
	v_and_b32_e32 v0, 0xc0, v0
	v_min_i32_e32 v13, v18, v15
	v_lshlrev_b32_e32 v18, 2, v22
	v_lshlrev_b32_e32 v20, 2, v14
	;; [unrolled: 1-line block ×4, first 2 shown]
	s_mov_b64 s[8:9], 0
	v_mov_b32_e32 v24, 0
	v_add_u32_e32 v25, s14, v17
	v_mov_b32_e32 v26, 1
	s_branch .LBB3_9
.LBB3_8:                                ;   in Loop: Header=BB3_9 Depth=1
	s_or_b64 exec, exec, s[14:15]
	ds_bpermute_b32 v13, v18, v27
	s_bcnt1_i32_b64 s14, vcc
	v_add_co_u32_e32 v5, vcc, s14, v5
	v_addc_co_u32_e32 v6, vcc, 0, v6, vcc
	s_waitcnt lgkmcnt(0)
	v_min_i32_e32 v13, v13, v27
	ds_bpermute_b32 v14, v19, v13
	s_waitcnt lgkmcnt(0)
	v_min_i32_e32 v13, v14, v13
	ds_bpermute_b32 v14, v20, v13
	;; [unrolled: 3-line block ×5, first 2 shown]
	s_waitcnt lgkmcnt(0)
	v_min_i32_e32 v13, v14, v13
	v_ashrrev_i32_e32 v14, 31, v13
	v_cmp_le_i64_e64 s[0:1], s[2:3], v[13:14]
	s_or_b64 s[8:9], s[0:1], s[8:9]
	s_andn2_b64 exec, exec, s[8:9]
	s_cbranch_execz .LBB3_31
.LBB3_9:                                ; =>This Loop Header: Depth=1
                                        ;     Child Loop BB3_12 Depth 2
                                        ;     Child Loop BB3_22 Depth 2
	v_cmp_lt_i64_e32 vcc, v[7:8], v[1:2]
	v_add_u32_e32 v28, v0, v17
	v_mov_b32_e32 v27, v16
	ds_write_b8 v28, v24
	s_waitcnt lgkmcnt(0)
	s_and_saveexec_b64 s[14:15], vcc
	s_cbranch_execz .LBB3_19
; %bb.10:                               ;   in Loop: Header=BB3_9 Depth=1
	v_lshlrev_b64 v[14:15], 2, v[7:8]
	v_mov_b32_e32 v27, s11
	v_add_co_u32_e32 v14, vcc, s10, v14
	v_addc_co_u32_e32 v15, vcc, v27, v15, vcc
	s_mov_b64 s[16:17], 0
	v_mov_b32_e32 v27, v16
	s_branch .LBB3_12
.LBB3_11:                               ;   in Loop: Header=BB3_12 Depth=2
	s_or_b64 exec, exec, s[18:19]
	s_and_b64 s[0:1], exec, s[0:1]
	s_or_b64 s[16:17], s[0:1], s[16:17]
	s_andn2_b64 exec, exec, s[16:17]
	s_cbranch_execz .LBB3_18
.LBB3_12:                               ;   Parent Loop BB3_9 Depth=1
                                        ; =>  This Inner Loop Header: Depth=2
	global_load_dword v29, v[14:15], off
	s_waitcnt vmcnt(0)
	v_subrev_u32_e32 v30, s12, v29
	v_sub_u32_e32 v29, v30, v13
	v_cmp_gt_u32_e32 vcc, 64, v29
	v_cmp_lt_u32_e64 s[0:1], 63, v29
	s_and_saveexec_b64 s[18:19], s[0:1]
	s_xor_b64 s[0:1], exec, s[18:19]
	s_cbranch_execnz .LBB3_15
; %bb.13:                               ;   in Loop: Header=BB3_12 Depth=2
	s_andn2_saveexec_b64 s[0:1], s[0:1]
	s_cbranch_execnz .LBB3_16
.LBB3_14:                               ;   in Loop: Header=BB3_12 Depth=2
	s_or_b64 exec, exec, s[0:1]
	s_mov_b64 s[0:1], -1
	s_and_saveexec_b64 s[18:19], vcc
	s_cbranch_execz .LBB3_11
	s_branch .LBB3_17
.LBB3_15:                               ;   in Loop: Header=BB3_12 Depth=2
	v_min_i32_e32 v27, v30, v27
                                        ; implicit-def: $vgpr29
	s_andn2_saveexec_b64 s[0:1], s[0:1]
	s_cbranch_execz .LBB3_14
.LBB3_16:                               ;   in Loop: Header=BB3_12 Depth=2
	v_add_u32_e32 v29, v0, v29
	ds_write_b8 v29, v26
	s_or_b64 exec, exec, s[0:1]
	s_mov_b64 s[0:1], -1
	s_and_saveexec_b64 s[18:19], vcc
	s_cbranch_execz .LBB3_11
.LBB3_17:                               ;   in Loop: Header=BB3_12 Depth=2
	v_add_co_u32_e32 v7, vcc, 64, v7
	v_addc_co_u32_e32 v8, vcc, 0, v8, vcc
	v_cmp_ge_i64_e64 s[0:1], v[7:8], v[1:2]
	v_add_co_u32_e32 v14, vcc, 0x100, v14
	v_addc_co_u32_e32 v15, vcc, 0, v15, vcc
	s_orn2_b64 s[0:1], s[0:1], exec
	s_branch .LBB3_11
.LBB3_18:                               ;   in Loop: Header=BB3_9 Depth=1
	s_or_b64 exec, exec, s[16:17]
.LBB3_19:                               ;   in Loop: Header=BB3_9 Depth=1
	s_or_b64 exec, exec, s[14:15]
	v_cmp_lt_i64_e32 vcc, v[9:10], v[3:4]
	s_waitcnt lgkmcnt(0)
	s_and_saveexec_b64 s[14:15], vcc
	s_cbranch_execz .LBB3_29
; %bb.20:                               ;   in Loop: Header=BB3_9 Depth=1
	v_lshlrev_b64 v[14:15], 2, v[9:10]
	v_mov_b32_e32 v29, s7
	v_add_co_u32_e32 v14, vcc, s6, v14
	v_addc_co_u32_e32 v15, vcc, v29, v15, vcc
	s_mov_b64 s[16:17], 0
	s_branch .LBB3_22
.LBB3_21:                               ;   in Loop: Header=BB3_22 Depth=2
	s_or_b64 exec, exec, s[18:19]
	s_and_b64 s[0:1], exec, s[0:1]
	s_or_b64 s[16:17], s[0:1], s[16:17]
	s_andn2_b64 exec, exec, s[16:17]
	s_cbranch_execz .LBB3_28
.LBB3_22:                               ;   Parent Loop BB3_9 Depth=1
                                        ; =>  This Inner Loop Header: Depth=2
	global_load_dword v29, v[14:15], off
	s_waitcnt vmcnt(0)
	v_subrev_u32_e32 v30, s13, v29
	v_sub_u32_e32 v29, v30, v13
	v_cmp_gt_u32_e32 vcc, 64, v29
	v_cmp_lt_u32_e64 s[0:1], 63, v29
	s_and_saveexec_b64 s[18:19], s[0:1]
	s_xor_b64 s[0:1], exec, s[18:19]
	s_cbranch_execnz .LBB3_25
; %bb.23:                               ;   in Loop: Header=BB3_22 Depth=2
	s_andn2_saveexec_b64 s[0:1], s[0:1]
	s_cbranch_execnz .LBB3_26
.LBB3_24:                               ;   in Loop: Header=BB3_22 Depth=2
	s_or_b64 exec, exec, s[0:1]
	s_mov_b64 s[0:1], -1
	s_and_saveexec_b64 s[18:19], vcc
	s_cbranch_execz .LBB3_21
	s_branch .LBB3_27
.LBB3_25:                               ;   in Loop: Header=BB3_22 Depth=2
	v_min_i32_e32 v27, v30, v27
                                        ; implicit-def: $vgpr29
	s_andn2_saveexec_b64 s[0:1], s[0:1]
	s_cbranch_execz .LBB3_24
.LBB3_26:                               ;   in Loop: Header=BB3_22 Depth=2
	v_add_u32_e32 v29, v0, v29
	ds_write_b8 v29, v26
	s_or_b64 exec, exec, s[0:1]
	s_mov_b64 s[0:1], -1
	s_and_saveexec_b64 s[18:19], vcc
	s_cbranch_execz .LBB3_21
.LBB3_27:                               ;   in Loop: Header=BB3_22 Depth=2
	v_add_co_u32_e32 v9, vcc, 64, v9
	v_addc_co_u32_e32 v10, vcc, 0, v10, vcc
	v_cmp_ge_i64_e64 s[0:1], v[9:10], v[3:4]
	v_add_co_u32_e32 v14, vcc, 0x100, v14
	v_addc_co_u32_e32 v15, vcc, 0, v15, vcc
	s_orn2_b64 s[0:1], s[0:1], exec
	s_branch .LBB3_21
.LBB3_28:                               ;   in Loop: Header=BB3_9 Depth=1
	s_or_b64 exec, exec, s[16:17]
.LBB3_29:                               ;   in Loop: Header=BB3_9 Depth=1
	s_or_b64 exec, exec, s[14:15]
	s_waitcnt lgkmcnt(0)
	ds_read_u8 v14, v28
	s_waitcnt lgkmcnt(0)
	v_and_b32_e32 v15, 1, v14
	v_cmp_eq_u32_e64 s[0:1], 1, v15
	v_cmp_ne_u16_e32 vcc, 0, v14
	s_and_saveexec_b64 s[14:15], s[0:1]
	s_cbranch_execz .LBB3_8
; %bb.30:                               ;   in Loop: Header=BB3_9 Depth=1
	v_lshlrev_b64 v[14:15], 2, v[5:6]
	v_mov_b32_e32 v28, s5
	v_add_co_u32_e64 v14, s[0:1], s4, v14
	v_and_b32_e32 v29, vcc_lo, v11
	v_addc_co_u32_e64 v15, s[0:1], v28, v15, s[0:1]
	v_and_b32_e32 v28, vcc_hi, v12
	v_bcnt_u32_b32 v29, v29, 0
	v_bcnt_u32_b32 v28, v28, v29
	v_lshlrev_b32_e32 v28, 2, v28
	v_add_co_u32_e64 v14, s[0:1], v14, v28
	v_addc_co_u32_e64 v15, s[0:1], 0, v15, s[0:1]
	v_add_u32_e32 v13, v25, v13
	global_store_dword v[14:15], v13, off offset:-4
	s_branch .LBB3_8
.LBB3_31:
	s_endpgm
	.section	.rodata,"a",@progbits
	.p2align	6, 0x0
	.amdhsa_kernel _ZN9rocsparseL38csrgeam_fill_symbolic_multipass_kernelILj256ELj64EliEEvllPKT1_PKT2_S3_S6_S3_PS4_21rocsparse_index_base_S8_S8_
		.amdhsa_group_segment_fixed_size 256
		.amdhsa_private_segment_fixed_size 0
		.amdhsa_kernarg_size 76
		.amdhsa_user_sgpr_count 6
		.amdhsa_user_sgpr_private_segment_buffer 1
		.amdhsa_user_sgpr_dispatch_ptr 0
		.amdhsa_user_sgpr_queue_ptr 0
		.amdhsa_user_sgpr_kernarg_segment_ptr 1
		.amdhsa_user_sgpr_dispatch_id 0
		.amdhsa_user_sgpr_flat_scratch_init 0
		.amdhsa_user_sgpr_private_segment_size 0
		.amdhsa_uses_dynamic_stack 0
		.amdhsa_system_sgpr_private_segment_wavefront_offset 0
		.amdhsa_system_sgpr_workgroup_id_x 1
		.amdhsa_system_sgpr_workgroup_id_y 0
		.amdhsa_system_sgpr_workgroup_id_z 0
		.amdhsa_system_sgpr_workgroup_info 0
		.amdhsa_system_vgpr_workitem_id 0
		.amdhsa_next_free_vgpr 31
		.amdhsa_next_free_sgpr 20
		.amdhsa_reserve_vcc 1
		.amdhsa_reserve_flat_scratch 0
		.amdhsa_float_round_mode_32 0
		.amdhsa_float_round_mode_16_64 0
		.amdhsa_float_denorm_mode_32 3
		.amdhsa_float_denorm_mode_16_64 3
		.amdhsa_dx10_clamp 1
		.amdhsa_ieee_mode 1
		.amdhsa_fp16_overflow 0
		.amdhsa_exception_fp_ieee_invalid_op 0
		.amdhsa_exception_fp_denorm_src 0
		.amdhsa_exception_fp_ieee_div_zero 0
		.amdhsa_exception_fp_ieee_overflow 0
		.amdhsa_exception_fp_ieee_underflow 0
		.amdhsa_exception_fp_ieee_inexact 0
		.amdhsa_exception_int_div_zero 0
	.end_amdhsa_kernel
	.section	.text._ZN9rocsparseL38csrgeam_fill_symbolic_multipass_kernelILj256ELj64EliEEvllPKT1_PKT2_S3_S6_S3_PS4_21rocsparse_index_base_S8_S8_,"axG",@progbits,_ZN9rocsparseL38csrgeam_fill_symbolic_multipass_kernelILj256ELj64EliEEvllPKT1_PKT2_S3_S6_S3_PS4_21rocsparse_index_base_S8_S8_,comdat
.Lfunc_end3:
	.size	_ZN9rocsparseL38csrgeam_fill_symbolic_multipass_kernelILj256ELj64EliEEvllPKT1_PKT2_S3_S6_S3_PS4_21rocsparse_index_base_S8_S8_, .Lfunc_end3-_ZN9rocsparseL38csrgeam_fill_symbolic_multipass_kernelILj256ELj64EliEEvllPKT1_PKT2_S3_S6_S3_PS4_21rocsparse_index_base_S8_S8_
                                        ; -- End function
	.set _ZN9rocsparseL38csrgeam_fill_symbolic_multipass_kernelILj256ELj64EliEEvllPKT1_PKT2_S3_S6_S3_PS4_21rocsparse_index_base_S8_S8_.num_vgpr, 31
	.set _ZN9rocsparseL38csrgeam_fill_symbolic_multipass_kernelILj256ELj64EliEEvllPKT1_PKT2_S3_S6_S3_PS4_21rocsparse_index_base_S8_S8_.num_agpr, 0
	.set _ZN9rocsparseL38csrgeam_fill_symbolic_multipass_kernelILj256ELj64EliEEvllPKT1_PKT2_S3_S6_S3_PS4_21rocsparse_index_base_S8_S8_.numbered_sgpr, 20
	.set _ZN9rocsparseL38csrgeam_fill_symbolic_multipass_kernelILj256ELj64EliEEvllPKT1_PKT2_S3_S6_S3_PS4_21rocsparse_index_base_S8_S8_.num_named_barrier, 0
	.set _ZN9rocsparseL38csrgeam_fill_symbolic_multipass_kernelILj256ELj64EliEEvllPKT1_PKT2_S3_S6_S3_PS4_21rocsparse_index_base_S8_S8_.private_seg_size, 0
	.set _ZN9rocsparseL38csrgeam_fill_symbolic_multipass_kernelILj256ELj64EliEEvllPKT1_PKT2_S3_S6_S3_PS4_21rocsparse_index_base_S8_S8_.uses_vcc, 1
	.set _ZN9rocsparseL38csrgeam_fill_symbolic_multipass_kernelILj256ELj64EliEEvllPKT1_PKT2_S3_S6_S3_PS4_21rocsparse_index_base_S8_S8_.uses_flat_scratch, 0
	.set _ZN9rocsparseL38csrgeam_fill_symbolic_multipass_kernelILj256ELj64EliEEvllPKT1_PKT2_S3_S6_S3_PS4_21rocsparse_index_base_S8_S8_.has_dyn_sized_stack, 0
	.set _ZN9rocsparseL38csrgeam_fill_symbolic_multipass_kernelILj256ELj64EliEEvllPKT1_PKT2_S3_S6_S3_PS4_21rocsparse_index_base_S8_S8_.has_recursion, 0
	.set _ZN9rocsparseL38csrgeam_fill_symbolic_multipass_kernelILj256ELj64EliEEvllPKT1_PKT2_S3_S6_S3_PS4_21rocsparse_index_base_S8_S8_.has_indirect_call, 0
	.section	.AMDGPU.csdata,"",@progbits
; Kernel info:
; codeLenInByte = 1256
; TotalNumSgprs: 24
; NumVgprs: 31
; ScratchSize: 0
; MemoryBound: 0
; FloatMode: 240
; IeeeMode: 1
; LDSByteSize: 256 bytes/workgroup (compile time only)
; SGPRBlocks: 2
; VGPRBlocks: 7
; NumSGPRsForWavesPerEU: 24
; NumVGPRsForWavesPerEU: 31
; Occupancy: 8
; WaveLimiterHint : 1
; COMPUTE_PGM_RSRC2:SCRATCH_EN: 0
; COMPUTE_PGM_RSRC2:USER_SGPR: 6
; COMPUTE_PGM_RSRC2:TRAP_HANDLER: 0
; COMPUTE_PGM_RSRC2:TGID_X_EN: 1
; COMPUTE_PGM_RSRC2:TGID_Y_EN: 0
; COMPUTE_PGM_RSRC2:TGID_Z_EN: 0
; COMPUTE_PGM_RSRC2:TIDIG_COMP_CNT: 0
	.section	.text._ZN9rocsparseL38csrgeam_fill_symbolic_multipass_kernelILj256ELj32EllEEvllPKT1_PKT2_S3_S6_S3_PS4_21rocsparse_index_base_S8_S8_,"axG",@progbits,_ZN9rocsparseL38csrgeam_fill_symbolic_multipass_kernelILj256ELj32EllEEvllPKT1_PKT2_S3_S6_S3_PS4_21rocsparse_index_base_S8_S8_,comdat
	.globl	_ZN9rocsparseL38csrgeam_fill_symbolic_multipass_kernelILj256ELj32EllEEvllPKT1_PKT2_S3_S6_S3_PS4_21rocsparse_index_base_S8_S8_ ; -- Begin function _ZN9rocsparseL38csrgeam_fill_symbolic_multipass_kernelILj256ELj32EllEEvllPKT1_PKT2_S3_S6_S3_PS4_21rocsparse_index_base_S8_S8_
	.p2align	8
	.type	_ZN9rocsparseL38csrgeam_fill_symbolic_multipass_kernelILj256ELj32EllEEvllPKT1_PKT2_S3_S6_S3_PS4_21rocsparse_index_base_S8_S8_,@function
_ZN9rocsparseL38csrgeam_fill_symbolic_multipass_kernelILj256ELj32EllEEvllPKT1_PKT2_S3_S6_S3_PS4_21rocsparse_index_base_S8_S8_: ; @_ZN9rocsparseL38csrgeam_fill_symbolic_multipass_kernelILj256ELj32EllEEvllPKT1_PKT2_S3_S6_S3_PS4_21rocsparse_index_base_S8_S8_
; %bb.0:
	s_load_dwordx4 s[0:3], s[4:5], 0x0
	s_lshl_b32 s6, s6, 3
	v_lshrrev_b32_e32 v1, 5, v0
	s_and_b32 s6, s6, 0x7fffff8
	v_or_b32_e32 v1, s6, v1
	v_mov_b32_e32 v2, 0
	s_waitcnt lgkmcnt(0)
	v_cmp_gt_i64_e32 vcc, s[0:1], v[1:2]
	s_and_saveexec_b64 s[0:1], vcc
	s_cbranch_execz .LBB4_29
; %bb.1:
	s_load_dwordx8 s[8:15], s[4:5], 0x10
	v_lshlrev_b32_e32 v9, 3, v1
	v_mov_b32_e32 v14, s3
	v_mov_b32_e32 v13, s2
	s_waitcnt lgkmcnt(0)
	global_load_dwordx4 v[1:4], v9, s[8:9]
	s_load_dwordx2 s[0:1], s[4:5], 0x30
	s_load_dwordx4 s[16:19], s[4:5], 0x40
	global_load_dwordx4 v[5:8], v9, s[12:13]
	s_waitcnt lgkmcnt(0)
	global_load_dwordx2 v[11:12], v9, s[0:1]
	s_waitcnt vmcnt(2)
	v_subrev_co_u32_e32 v9, vcc, s16, v1
	v_subbrev_co_u32_e32 v10, vcc, 0, v2, vcc
	v_cmp_lt_i64_e32 vcc, v[1:2], v[3:4]
	s_and_saveexec_b64 s[0:1], vcc
	s_cbranch_execz .LBB4_3
; %bb.2:
	v_lshlrev_b64 v[1:2], 3, v[9:10]
	v_mov_b32_e32 v13, s11
	v_add_co_u32_e32 v1, vcc, s10, v1
	v_addc_co_u32_e32 v2, vcc, v13, v2, vcc
	global_load_dwordx2 v[1:2], v[1:2], off
	s_waitcnt vmcnt(0)
	v_subrev_co_u32_e32 v13, vcc, s16, v1
	v_subbrev_co_u32_e32 v14, vcc, 0, v2, vcc
.LBB4_3:
	s_or_b64 exec, exec, s[0:1]
	s_load_dwordx2 s[4:5], s[4:5], 0x38
	s_waitcnt vmcnt(1)
	v_subrev_co_u32_e32 v15, vcc, s17, v5
	v_subbrev_co_u32_e32 v16, vcc, 0, v6, vcc
	v_cmp_lt_i64_e32 vcc, v[5:6], v[7:8]
	v_mov_b32_e32 v18, s3
	s_mov_b32 s20, s17
	v_mov_b32_e32 v17, s2
	s_and_saveexec_b64 s[0:1], vcc
	s_cbranch_execz .LBB4_5
; %bb.4:
	v_lshlrev_b64 v[1:2], 3, v[15:16]
	v_mov_b32_e32 v5, s15
	v_add_co_u32_e32 v1, vcc, s14, v1
	v_addc_co_u32_e32 v2, vcc, v5, v2, vcc
	global_load_dwordx2 v[1:2], v[1:2], off
	s_waitcnt vmcnt(0)
	v_subrev_co_u32_e32 v17, vcc, s20, v1
	v_subbrev_co_u32_e32 v18, vcc, 0, v2, vcc
.LBB4_5:
	s_or_b64 exec, exec, s[0:1]
	v_subrev_co_u32_e32 v1, vcc, s16, v3
	v_subbrev_co_u32_e32 v2, vcc, 0, v4, vcc
	v_subrev_co_u32_e32 v3, vcc, s20, v7
	v_subbrev_co_u32_e32 v4, vcc, 0, v8, vcc
	s_waitcnt vmcnt(0)
	v_subrev_co_u32_e32 v5, vcc, s18, v11
	v_subbrev_co_u32_e32 v6, vcc, 0, v12, vcc
	v_cmp_lt_i64_e32 vcc, v[17:18], v[13:14]
	v_and_b32_e32 v21, 31, v0
	v_cndmask_b32_e32 v12, v14, v18, vcc
	v_cndmask_b32_e32 v11, v13, v17, vcc
	v_add_co_u32_e32 v7, vcc, v9, v21
	v_mbcnt_lo_u32_b32 v13, -1, 0
	v_addc_co_u32_e32 v8, vcc, 0, v10, vcc
	v_mbcnt_hi_u32_b32 v13, -1, v13
	v_add_co_u32_e32 v9, vcc, v15, v21
	v_and_b32_e32 v14, 64, v13
	v_addc_co_u32_e32 v10, vcc, 0, v16, vcc
	v_add_u32_e32 v14, 64, v14
	v_xor_b32_e32 v15, 16, v13
	v_xor_b32_e32 v16, 8, v13
	v_cmp_lt_i32_e32 vcc, v15, v14
	v_xor_b32_e32 v17, 4, v13
	v_cndmask_b32_e32 v15, v13, v15, vcc
	v_cmp_lt_i32_e32 vcc, v16, v14
	v_xor_b32_e32 v18, 2, v13
	v_cndmask_b32_e32 v16, v13, v16, vcc
	;; [unrolled: 3-line block ×3, first 2 shown]
	v_cmp_lt_i32_e32 vcc, v18, v14
	v_cndmask_b32_e32 v18, v13, v18, vcc
	v_cmp_lt_i32_e32 vcc, v19, v14
	v_cndmask_b32_e32 v13, v13, v19, vcc
	v_xor_b32_e32 v14, 31, v21
	v_add_co_u32_e32 v28, vcc, s18, v21
	v_and_b32_e32 v0, 0xe0, v0
	v_lshrrev_b32_e64 v22, v14, -1
	v_lshlrev_b32_e32 v23, 2, v15
	v_lshlrev_b32_e32 v24, 2, v16
	;; [unrolled: 1-line block ×5, first 2 shown]
	s_mov_b64 s[6:7], 0
	v_addc_co_u32_e64 v29, s[0:1], 0, 0, vcc
	v_mov_b32_e32 v30, 1
	s_branch .LBB4_7
.LBB4_6:                                ;   in Loop: Header=BB4_7 Depth=1
	s_or_b64 exec, exec, s[8:9]
	ds_bpermute_b32 v11, v23, v13
	ds_bpermute_b32 v12, v23, v14
	s_bcnt1_i32_b64 s8, vcc
	v_add_co_u32_e32 v5, vcc, s8, v5
	v_addc_co_u32_e32 v6, vcc, 0, v6, vcc
	s_waitcnt lgkmcnt(0)
	v_cmp_lt_i64_e64 s[0:1], v[11:12], v[13:14]
	v_cndmask_b32_e64 v12, v14, v12, s[0:1]
	v_cndmask_b32_e64 v11, v13, v11, s[0:1]
	ds_bpermute_b32 v14, v24, v12
	ds_bpermute_b32 v13, v24, v11
	s_waitcnt lgkmcnt(0)
	v_cmp_lt_i64_e64 s[0:1], v[13:14], v[11:12]
	v_cndmask_b32_e64 v12, v12, v14, s[0:1]
	v_cndmask_b32_e64 v11, v11, v13, s[0:1]
	ds_bpermute_b32 v14, v25, v12
	ds_bpermute_b32 v13, v25, v11
	;; [unrolled: 6-line block ×4, first 2 shown]
	s_waitcnt lgkmcnt(0)
	v_cmp_lt_i64_e64 s[0:1], v[13:14], v[11:12]
	v_cndmask_b32_e64 v12, v12, v14, s[0:1]
	v_cndmask_b32_e64 v11, v11, v13, s[0:1]
	v_cmp_le_i64_e64 s[0:1], s[2:3], v[11:12]
	s_or_b64 s[6:7], s[0:1], s[6:7]
	s_andn2_b64 exec, exec, s[6:7]
	s_cbranch_execz .LBB4_29
.LBB4_7:                                ; =>This Loop Header: Depth=1
                                        ;     Child Loop BB4_10 Depth 2
                                        ;     Child Loop BB4_20 Depth 2
	v_add_u32_e32 v31, v0, v21
	v_mov_b32_e32 v13, 0
	ds_write_b8 v31, v13
	v_cmp_lt_i64_e32 vcc, v[7:8], v[1:2]
	v_mov_b32_e32 v14, s3
	v_mov_b32_e32 v13, s2
	s_waitcnt lgkmcnt(0)
	s_and_saveexec_b64 s[8:9], vcc
	s_cbranch_execz .LBB4_17
; %bb.8:                                ;   in Loop: Header=BB4_7 Depth=1
	v_lshlrev_b64 v[13:14], 3, v[7:8]
	v_mov_b32_e32 v16, s11
	v_add_co_u32_e32 v15, vcc, s10, v13
	v_addc_co_u32_e32 v16, vcc, v16, v14, vcc
	v_mov_b32_e32 v14, s3
	s_mov_b64 s[12:13], 0
	v_mov_b32_e32 v13, s2
	s_branch .LBB4_10
.LBB4_9:                                ;   in Loop: Header=BB4_10 Depth=2
	s_or_b64 exec, exec, s[18:19]
	s_and_b64 s[0:1], exec, s[0:1]
	s_or_b64 s[12:13], s[0:1], s[12:13]
	s_andn2_b64 exec, exec, s[12:13]
	s_cbranch_execz .LBB4_16
.LBB4_10:                               ;   Parent Loop BB4_7 Depth=1
                                        ; =>  This Inner Loop Header: Depth=2
	global_load_dwordx2 v[17:18], v[15:16], off
	s_waitcnt vmcnt(0)
	v_subrev_co_u32_e32 v19, vcc, s16, v17
	v_subbrev_co_u32_e32 v20, vcc, 0, v18, vcc
	v_sub_co_u32_e32 v17, vcc, v19, v11
	v_subb_co_u32_e32 v18, vcc, v20, v12, vcc
	v_cmp_gt_i64_e32 vcc, 32, v[17:18]
	v_cmp_lt_i64_e64 s[0:1], 31, v[17:18]
	s_and_saveexec_b64 s[18:19], s[0:1]
	s_xor_b64 s[18:19], exec, s[18:19]
	s_cbranch_execnz .LBB4_13
; %bb.11:                               ;   in Loop: Header=BB4_10 Depth=2
	s_andn2_saveexec_b64 s[0:1], s[18:19]
	s_cbranch_execnz .LBB4_14
.LBB4_12:                               ;   in Loop: Header=BB4_10 Depth=2
	s_or_b64 exec, exec, s[0:1]
	s_mov_b64 s[0:1], -1
	s_and_saveexec_b64 s[18:19], vcc
	s_cbranch_execz .LBB4_9
	s_branch .LBB4_15
.LBB4_13:                               ;   in Loop: Header=BB4_10 Depth=2
	v_cmp_lt_i64_e64 s[0:1], v[19:20], v[13:14]
                                        ; implicit-def: $vgpr17
	v_cndmask_b32_e64 v14, v14, v20, s[0:1]
	v_cndmask_b32_e64 v13, v13, v19, s[0:1]
	s_andn2_saveexec_b64 s[0:1], s[18:19]
	s_cbranch_execz .LBB4_12
.LBB4_14:                               ;   in Loop: Header=BB4_10 Depth=2
	v_add_u32_e32 v17, v0, v17
	ds_write_b8 v17, v30
	s_or_b64 exec, exec, s[0:1]
	s_mov_b64 s[0:1], -1
	s_and_saveexec_b64 s[18:19], vcc
	s_cbranch_execz .LBB4_9
.LBB4_15:                               ;   in Loop: Header=BB4_10 Depth=2
	v_add_co_u32_e32 v7, vcc, 32, v7
	v_addc_co_u32_e32 v8, vcc, 0, v8, vcc
	v_cmp_ge_i64_e64 s[0:1], v[7:8], v[1:2]
	v_add_co_u32_e32 v15, vcc, 0x100, v15
	v_addc_co_u32_e32 v16, vcc, 0, v16, vcc
	s_orn2_b64 s[0:1], s[0:1], exec
	s_branch .LBB4_9
.LBB4_16:                               ;   in Loop: Header=BB4_7 Depth=1
	s_or_b64 exec, exec, s[12:13]
.LBB4_17:                               ;   in Loop: Header=BB4_7 Depth=1
	s_or_b64 exec, exec, s[8:9]
	v_cmp_lt_i64_e32 vcc, v[9:10], v[3:4]
	s_waitcnt lgkmcnt(0)
	s_and_saveexec_b64 s[8:9], vcc
	s_cbranch_execz .LBB4_27
; %bb.18:                               ;   in Loop: Header=BB4_7 Depth=1
	v_lshlrev_b64 v[15:16], 3, v[9:10]
	v_mov_b32_e32 v17, s15
	v_add_co_u32_e32 v15, vcc, s14, v15
	v_addc_co_u32_e32 v16, vcc, v17, v16, vcc
	s_mov_b64 s[12:13], 0
	s_branch .LBB4_20
.LBB4_19:                               ;   in Loop: Header=BB4_20 Depth=2
	s_or_b64 exec, exec, s[18:19]
	s_and_b64 s[0:1], exec, s[0:1]
	s_or_b64 s[12:13], s[0:1], s[12:13]
	s_andn2_b64 exec, exec, s[12:13]
	s_cbranch_execz .LBB4_26
.LBB4_20:                               ;   Parent Loop BB4_7 Depth=1
                                        ; =>  This Inner Loop Header: Depth=2
	global_load_dwordx2 v[17:18], v[15:16], off
	s_waitcnt vmcnt(0)
	v_subrev_co_u32_e32 v19, vcc, s20, v17
	v_subbrev_co_u32_e32 v20, vcc, 0, v18, vcc
	v_sub_co_u32_e32 v17, vcc, v19, v11
	v_subb_co_u32_e32 v18, vcc, v20, v12, vcc
	v_cmp_gt_i64_e32 vcc, 32, v[17:18]
	v_cmp_lt_i64_e64 s[0:1], 31, v[17:18]
	s_and_saveexec_b64 s[18:19], s[0:1]
	s_xor_b64 s[18:19], exec, s[18:19]
	s_cbranch_execnz .LBB4_23
; %bb.21:                               ;   in Loop: Header=BB4_20 Depth=2
	s_andn2_saveexec_b64 s[0:1], s[18:19]
	s_cbranch_execnz .LBB4_24
.LBB4_22:                               ;   in Loop: Header=BB4_20 Depth=2
	s_or_b64 exec, exec, s[0:1]
	s_mov_b64 s[0:1], -1
	s_and_saveexec_b64 s[18:19], vcc
	s_cbranch_execz .LBB4_19
	s_branch .LBB4_25
.LBB4_23:                               ;   in Loop: Header=BB4_20 Depth=2
	v_cmp_lt_i64_e64 s[0:1], v[19:20], v[13:14]
                                        ; implicit-def: $vgpr17
	v_cndmask_b32_e64 v14, v14, v20, s[0:1]
	v_cndmask_b32_e64 v13, v13, v19, s[0:1]
	s_andn2_saveexec_b64 s[0:1], s[18:19]
	s_cbranch_execz .LBB4_22
.LBB4_24:                               ;   in Loop: Header=BB4_20 Depth=2
	v_add_u32_e32 v17, v0, v17
	ds_write_b8 v17, v30
	s_or_b64 exec, exec, s[0:1]
	s_mov_b64 s[0:1], -1
	s_and_saveexec_b64 s[18:19], vcc
	s_cbranch_execz .LBB4_19
.LBB4_25:                               ;   in Loop: Header=BB4_20 Depth=2
	v_add_co_u32_e32 v9, vcc, 32, v9
	v_addc_co_u32_e32 v10, vcc, 0, v10, vcc
	v_cmp_ge_i64_e64 s[0:1], v[9:10], v[3:4]
	v_add_co_u32_e32 v15, vcc, 0x100, v15
	v_addc_co_u32_e32 v16, vcc, 0, v16, vcc
	s_orn2_b64 s[0:1], s[0:1], exec
	s_branch .LBB4_19
.LBB4_26:                               ;   in Loop: Header=BB4_7 Depth=1
	s_or_b64 exec, exec, s[12:13]
.LBB4_27:                               ;   in Loop: Header=BB4_7 Depth=1
	s_or_b64 exec, exec, s[8:9]
	s_waitcnt lgkmcnt(0)
	ds_read_u8 v15, v31
	s_waitcnt lgkmcnt(0)
	v_and_b32_e32 v16, 1, v15
	v_cmp_eq_u32_e64 s[0:1], 1, v16
	v_cmp_ne_u16_e32 vcc, 0, v15
	s_and_saveexec_b64 s[8:9], s[0:1]
	s_cbranch_execz .LBB4_6
; %bb.28:                               ;   in Loop: Header=BB4_7 Depth=1
	v_lshlrev_b64 v[15:16], 3, v[5:6]
	v_mov_b32_e32 v17, s5
	v_add_co_u32_e64 v15, s[0:1], s4, v15
	v_addc_co_u32_e64 v16, s[0:1], v17, v16, s[0:1]
	v_and_b32_e32 v17, vcc_lo, v22
	v_bcnt_u32_b32 v17, v17, 0
	v_lshlrev_b32_e32 v17, 3, v17
	v_add_co_u32_e64 v15, s[0:1], v15, v17
	v_addc_co_u32_e64 v16, s[0:1], 0, v16, s[0:1]
	v_add_co_u32_e64 v11, s[0:1], v28, v11
	v_addc_co_u32_e64 v12, s[0:1], v29, v12, s[0:1]
	global_store_dwordx2 v[15:16], v[11:12], off offset:-8
	s_branch .LBB4_6
.LBB4_29:
	s_endpgm
	.section	.rodata,"a",@progbits
	.p2align	6, 0x0
	.amdhsa_kernel _ZN9rocsparseL38csrgeam_fill_symbolic_multipass_kernelILj256ELj32EllEEvllPKT1_PKT2_S3_S6_S3_PS4_21rocsparse_index_base_S8_S8_
		.amdhsa_group_segment_fixed_size 256
		.amdhsa_private_segment_fixed_size 0
		.amdhsa_kernarg_size 76
		.amdhsa_user_sgpr_count 6
		.amdhsa_user_sgpr_private_segment_buffer 1
		.amdhsa_user_sgpr_dispatch_ptr 0
		.amdhsa_user_sgpr_queue_ptr 0
		.amdhsa_user_sgpr_kernarg_segment_ptr 1
		.amdhsa_user_sgpr_dispatch_id 0
		.amdhsa_user_sgpr_flat_scratch_init 0
		.amdhsa_user_sgpr_private_segment_size 0
		.amdhsa_uses_dynamic_stack 0
		.amdhsa_system_sgpr_private_segment_wavefront_offset 0
		.amdhsa_system_sgpr_workgroup_id_x 1
		.amdhsa_system_sgpr_workgroup_id_y 0
		.amdhsa_system_sgpr_workgroup_id_z 0
		.amdhsa_system_sgpr_workgroup_info 0
		.amdhsa_system_vgpr_workitem_id 0
		.amdhsa_next_free_vgpr 32
		.amdhsa_next_free_sgpr 21
		.amdhsa_reserve_vcc 1
		.amdhsa_reserve_flat_scratch 0
		.amdhsa_float_round_mode_32 0
		.amdhsa_float_round_mode_16_64 0
		.amdhsa_float_denorm_mode_32 3
		.amdhsa_float_denorm_mode_16_64 3
		.amdhsa_dx10_clamp 1
		.amdhsa_ieee_mode 1
		.amdhsa_fp16_overflow 0
		.amdhsa_exception_fp_ieee_invalid_op 0
		.amdhsa_exception_fp_denorm_src 0
		.amdhsa_exception_fp_ieee_div_zero 0
		.amdhsa_exception_fp_ieee_overflow 0
		.amdhsa_exception_fp_ieee_underflow 0
		.amdhsa_exception_fp_ieee_inexact 0
		.amdhsa_exception_int_div_zero 0
	.end_amdhsa_kernel
	.section	.text._ZN9rocsparseL38csrgeam_fill_symbolic_multipass_kernelILj256ELj32EllEEvllPKT1_PKT2_S3_S6_S3_PS4_21rocsparse_index_base_S8_S8_,"axG",@progbits,_ZN9rocsparseL38csrgeam_fill_symbolic_multipass_kernelILj256ELj32EllEEvllPKT1_PKT2_S3_S6_S3_PS4_21rocsparse_index_base_S8_S8_,comdat
.Lfunc_end4:
	.size	_ZN9rocsparseL38csrgeam_fill_symbolic_multipass_kernelILj256ELj32EllEEvllPKT1_PKT2_S3_S6_S3_PS4_21rocsparse_index_base_S8_S8_, .Lfunc_end4-_ZN9rocsparseL38csrgeam_fill_symbolic_multipass_kernelILj256ELj32EllEEvllPKT1_PKT2_S3_S6_S3_PS4_21rocsparse_index_base_S8_S8_
                                        ; -- End function
	.set _ZN9rocsparseL38csrgeam_fill_symbolic_multipass_kernelILj256ELj32EllEEvllPKT1_PKT2_S3_S6_S3_PS4_21rocsparse_index_base_S8_S8_.num_vgpr, 32
	.set _ZN9rocsparseL38csrgeam_fill_symbolic_multipass_kernelILj256ELj32EllEEvllPKT1_PKT2_S3_S6_S3_PS4_21rocsparse_index_base_S8_S8_.num_agpr, 0
	.set _ZN9rocsparseL38csrgeam_fill_symbolic_multipass_kernelILj256ELj32EllEEvllPKT1_PKT2_S3_S6_S3_PS4_21rocsparse_index_base_S8_S8_.numbered_sgpr, 21
	.set _ZN9rocsparseL38csrgeam_fill_symbolic_multipass_kernelILj256ELj32EllEEvllPKT1_PKT2_S3_S6_S3_PS4_21rocsparse_index_base_S8_S8_.num_named_barrier, 0
	.set _ZN9rocsparseL38csrgeam_fill_symbolic_multipass_kernelILj256ELj32EllEEvllPKT1_PKT2_S3_S6_S3_PS4_21rocsparse_index_base_S8_S8_.private_seg_size, 0
	.set _ZN9rocsparseL38csrgeam_fill_symbolic_multipass_kernelILj256ELj32EllEEvllPKT1_PKT2_S3_S6_S3_PS4_21rocsparse_index_base_S8_S8_.uses_vcc, 1
	.set _ZN9rocsparseL38csrgeam_fill_symbolic_multipass_kernelILj256ELj32EllEEvllPKT1_PKT2_S3_S6_S3_PS4_21rocsparse_index_base_S8_S8_.uses_flat_scratch, 0
	.set _ZN9rocsparseL38csrgeam_fill_symbolic_multipass_kernelILj256ELj32EllEEvllPKT1_PKT2_S3_S6_S3_PS4_21rocsparse_index_base_S8_S8_.has_dyn_sized_stack, 0
	.set _ZN9rocsparseL38csrgeam_fill_symbolic_multipass_kernelILj256ELj32EllEEvllPKT1_PKT2_S3_S6_S3_PS4_21rocsparse_index_base_S8_S8_.has_recursion, 0
	.set _ZN9rocsparseL38csrgeam_fill_symbolic_multipass_kernelILj256ELj32EllEEvllPKT1_PKT2_S3_S6_S3_PS4_21rocsparse_index_base_S8_S8_.has_indirect_call, 0
	.section	.AMDGPU.csdata,"",@progbits
; Kernel info:
; codeLenInByte = 1396
; TotalNumSgprs: 25
; NumVgprs: 32
; ScratchSize: 0
; MemoryBound: 0
; FloatMode: 240
; IeeeMode: 1
; LDSByteSize: 256 bytes/workgroup (compile time only)
; SGPRBlocks: 3
; VGPRBlocks: 7
; NumSGPRsForWavesPerEU: 25
; NumVGPRsForWavesPerEU: 32
; Occupancy: 8
; WaveLimiterHint : 1
; COMPUTE_PGM_RSRC2:SCRATCH_EN: 0
; COMPUTE_PGM_RSRC2:USER_SGPR: 6
; COMPUTE_PGM_RSRC2:TRAP_HANDLER: 0
; COMPUTE_PGM_RSRC2:TGID_X_EN: 1
; COMPUTE_PGM_RSRC2:TGID_Y_EN: 0
; COMPUTE_PGM_RSRC2:TGID_Z_EN: 0
; COMPUTE_PGM_RSRC2:TIDIG_COMP_CNT: 0
	.section	.text._ZN9rocsparseL38csrgeam_fill_symbolic_multipass_kernelILj256ELj64EllEEvllPKT1_PKT2_S3_S6_S3_PS4_21rocsparse_index_base_S8_S8_,"axG",@progbits,_ZN9rocsparseL38csrgeam_fill_symbolic_multipass_kernelILj256ELj64EllEEvllPKT1_PKT2_S3_S6_S3_PS4_21rocsparse_index_base_S8_S8_,comdat
	.globl	_ZN9rocsparseL38csrgeam_fill_symbolic_multipass_kernelILj256ELj64EllEEvllPKT1_PKT2_S3_S6_S3_PS4_21rocsparse_index_base_S8_S8_ ; -- Begin function _ZN9rocsparseL38csrgeam_fill_symbolic_multipass_kernelILj256ELj64EllEEvllPKT1_PKT2_S3_S6_S3_PS4_21rocsparse_index_base_S8_S8_
	.p2align	8
	.type	_ZN9rocsparseL38csrgeam_fill_symbolic_multipass_kernelILj256ELj64EllEEvllPKT1_PKT2_S3_S6_S3_PS4_21rocsparse_index_base_S8_S8_,@function
_ZN9rocsparseL38csrgeam_fill_symbolic_multipass_kernelILj256ELj64EllEEvllPKT1_PKT2_S3_S6_S3_PS4_21rocsparse_index_base_S8_S8_: ; @_ZN9rocsparseL38csrgeam_fill_symbolic_multipass_kernelILj256ELj64EllEEvllPKT1_PKT2_S3_S6_S3_PS4_21rocsparse_index_base_S8_S8_
; %bb.0:
	s_load_dwordx4 s[0:3], s[4:5], 0x0
	s_lshl_b32 s6, s6, 2
	v_lshrrev_b32_e32 v1, 6, v0
	s_and_b32 s6, s6, 0x3fffffc
	v_or_b32_e32 v1, s6, v1
	v_mov_b32_e32 v2, 0
	s_waitcnt lgkmcnt(0)
	v_cmp_gt_i64_e32 vcc, s[0:1], v[1:2]
	s_and_saveexec_b64 s[0:1], vcc
	s_cbranch_execz .LBB5_29
; %bb.1:
	s_load_dwordx8 s[8:15], s[4:5], 0x10
	v_lshlrev_b32_e32 v9, 3, v1
	v_mov_b32_e32 v14, s3
	v_mov_b32_e32 v13, s2
	s_waitcnt lgkmcnt(0)
	global_load_dwordx4 v[1:4], v9, s[8:9]
	s_load_dwordx2 s[0:1], s[4:5], 0x30
	s_load_dwordx4 s[16:19], s[4:5], 0x40
	global_load_dwordx4 v[5:8], v9, s[12:13]
	s_waitcnt lgkmcnt(0)
	global_load_dwordx2 v[11:12], v9, s[0:1]
	s_waitcnt vmcnt(2)
	v_subrev_co_u32_e32 v9, vcc, s16, v1
	v_subbrev_co_u32_e32 v10, vcc, 0, v2, vcc
	v_cmp_lt_i64_e32 vcc, v[1:2], v[3:4]
	s_and_saveexec_b64 s[0:1], vcc
	s_cbranch_execz .LBB5_3
; %bb.2:
	v_lshlrev_b64 v[1:2], 3, v[9:10]
	v_mov_b32_e32 v13, s11
	v_add_co_u32_e32 v1, vcc, s10, v1
	v_addc_co_u32_e32 v2, vcc, v13, v2, vcc
	global_load_dwordx2 v[1:2], v[1:2], off
	s_waitcnt vmcnt(0)
	v_subrev_co_u32_e32 v13, vcc, s16, v1
	v_subbrev_co_u32_e32 v14, vcc, 0, v2, vcc
.LBB5_3:
	s_or_b64 exec, exec, s[0:1]
	s_load_dwordx2 s[4:5], s[4:5], 0x38
	s_waitcnt vmcnt(1)
	v_subrev_co_u32_e32 v15, vcc, s17, v5
	v_subbrev_co_u32_e32 v16, vcc, 0, v6, vcc
	v_cmp_lt_i64_e32 vcc, v[5:6], v[7:8]
	v_mov_b32_e32 v18, s3
	s_mov_b32 s20, s17
	v_mov_b32_e32 v17, s2
	s_and_saveexec_b64 s[0:1], vcc
	s_cbranch_execz .LBB5_5
; %bb.4:
	v_lshlrev_b64 v[1:2], 3, v[15:16]
	v_mov_b32_e32 v5, s15
	v_add_co_u32_e32 v1, vcc, s14, v1
	v_addc_co_u32_e32 v2, vcc, v5, v2, vcc
	global_load_dwordx2 v[1:2], v[1:2], off
	s_waitcnt vmcnt(0)
	v_subrev_co_u32_e32 v17, vcc, s20, v1
	v_subbrev_co_u32_e32 v18, vcc, 0, v2, vcc
.LBB5_5:
	s_or_b64 exec, exec, s[0:1]
	v_subrev_co_u32_e32 v1, vcc, s16, v3
	v_subbrev_co_u32_e32 v2, vcc, 0, v4, vcc
	v_subrev_co_u32_e32 v3, vcc, s20, v7
	v_subbrev_co_u32_e32 v4, vcc, 0, v8, vcc
	s_waitcnt vmcnt(0)
	v_subrev_co_u32_e32 v5, vcc, s18, v11
	v_subbrev_co_u32_e32 v6, vcc, 0, v12, vcc
	v_cmp_lt_i64_e32 vcc, v[17:18], v[13:14]
	v_and_b32_e32 v23, 63, v0
	v_cndmask_b32_e32 v14, v14, v18, vcc
	v_cndmask_b32_e32 v13, v13, v17, vcc
	v_add_co_u32_e32 v7, vcc, v9, v23
	v_mbcnt_lo_u32_b32 v11, -1, 0
	v_addc_co_u32_e32 v8, vcc, 0, v10, vcc
	v_mbcnt_hi_u32_b32 v11, -1, v11
	v_add_co_u32_e32 v9, vcc, v15, v23
	v_and_b32_e32 v12, 64, v11
	v_addc_co_u32_e32 v10, vcc, 0, v16, vcc
	v_add_u32_e32 v12, 64, v12
	v_xor_b32_e32 v20, 32, v11
	v_xor_b32_e32 v15, 16, v11
	v_cmp_lt_i32_e32 vcc, v20, v12
	v_xor_b32_e32 v16, 8, v11
	v_cndmask_b32_e32 v20, v11, v20, vcc
	v_cmp_lt_i32_e32 vcc, v15, v12
	v_xor_b32_e32 v17, 4, v11
	v_cndmask_b32_e32 v15, v11, v15, vcc
	;; [unrolled: 3-line block ×4, first 2 shown]
	v_cmp_lt_i32_e32 vcc, v18, v12
	v_cndmask_b32_e32 v18, v11, v18, vcc
	v_cmp_lt_i32_e32 vcc, v19, v12
	v_cndmask_b32_e32 v11, v11, v19, vcc
	v_lshlrev_b32_e32 v29, 2, v11
	v_xor_b32_e32 v11, 63, v23
	v_lshrrev_b64 v[11:12], v11, -1
	v_add_co_u32_e32 v31, vcc, s18, v23
	v_and_b32_e32 v0, 0xc0, v0
	v_lshlrev_b32_e32 v24, 2, v20
	v_lshlrev_b32_e32 v25, 2, v15
	;; [unrolled: 1-line block ×5, first 2 shown]
	s_mov_b64 s[6:7], 0
	v_mov_b32_e32 v30, 0
	v_addc_co_u32_e64 v32, s[0:1], 0, 0, vcc
	v_mov_b32_e32 v33, 1
	s_branch .LBB5_7
.LBB5_6:                                ;   in Loop: Header=BB5_7 Depth=1
	s_or_b64 exec, exec, s[8:9]
	ds_bpermute_b32 v13, v24, v15
	ds_bpermute_b32 v14, v24, v16
	s_bcnt1_i32_b64 s8, vcc
	v_add_co_u32_e32 v5, vcc, s8, v5
	v_addc_co_u32_e32 v6, vcc, 0, v6, vcc
	s_waitcnt lgkmcnt(0)
	v_cmp_lt_i64_e64 s[0:1], v[13:14], v[15:16]
	v_cndmask_b32_e64 v14, v16, v14, s[0:1]
	v_cndmask_b32_e64 v13, v15, v13, s[0:1]
	ds_bpermute_b32 v16, v25, v14
	ds_bpermute_b32 v15, v25, v13
	s_waitcnt lgkmcnt(0)
	v_cmp_lt_i64_e64 s[0:1], v[15:16], v[13:14]
	v_cndmask_b32_e64 v14, v14, v16, s[0:1]
	v_cndmask_b32_e64 v13, v13, v15, s[0:1]
	ds_bpermute_b32 v16, v26, v14
	ds_bpermute_b32 v15, v26, v13
	;; [unrolled: 6-line block ×5, first 2 shown]
	s_waitcnt lgkmcnt(0)
	v_cmp_lt_i64_e64 s[0:1], v[15:16], v[13:14]
	v_cndmask_b32_e64 v14, v14, v16, s[0:1]
	v_cndmask_b32_e64 v13, v13, v15, s[0:1]
	v_cmp_le_i64_e64 s[0:1], s[2:3], v[13:14]
	s_or_b64 s[6:7], s[0:1], s[6:7]
	s_andn2_b64 exec, exec, s[6:7]
	s_cbranch_execz .LBB5_29
.LBB5_7:                                ; =>This Loop Header: Depth=1
                                        ;     Child Loop BB5_10 Depth 2
                                        ;     Child Loop BB5_20 Depth 2
	v_cmp_lt_i64_e32 vcc, v[7:8], v[1:2]
	v_mov_b32_e32 v16, s3
	v_add_u32_e32 v34, v0, v23
	v_mov_b32_e32 v15, s2
	ds_write_b8 v34, v30
	s_waitcnt lgkmcnt(0)
	s_and_saveexec_b64 s[8:9], vcc
	s_cbranch_execz .LBB5_17
; %bb.8:                                ;   in Loop: Header=BB5_7 Depth=1
	v_lshlrev_b64 v[15:16], 3, v[7:8]
	v_mov_b32_e32 v18, s11
	v_add_co_u32_e32 v17, vcc, s10, v15
	v_addc_co_u32_e32 v18, vcc, v18, v16, vcc
	v_mov_b32_e32 v16, s3
	s_mov_b64 s[12:13], 0
	v_mov_b32_e32 v15, s2
	s_branch .LBB5_10
.LBB5_9:                                ;   in Loop: Header=BB5_10 Depth=2
	s_or_b64 exec, exec, s[18:19]
	s_and_b64 s[0:1], exec, s[0:1]
	s_or_b64 s[12:13], s[0:1], s[12:13]
	s_andn2_b64 exec, exec, s[12:13]
	s_cbranch_execz .LBB5_16
.LBB5_10:                               ;   Parent Loop BB5_7 Depth=1
                                        ; =>  This Inner Loop Header: Depth=2
	global_load_dwordx2 v[19:20], v[17:18], off
	s_waitcnt vmcnt(0)
	v_subrev_co_u32_e32 v21, vcc, s16, v19
	v_subbrev_co_u32_e32 v22, vcc, 0, v20, vcc
	v_sub_co_u32_e32 v19, vcc, v21, v13
	v_subb_co_u32_e32 v20, vcc, v22, v14, vcc
	v_cmp_gt_i64_e32 vcc, 64, v[19:20]
	v_cmp_lt_i64_e64 s[0:1], 63, v[19:20]
	s_and_saveexec_b64 s[18:19], s[0:1]
	s_xor_b64 s[18:19], exec, s[18:19]
	s_cbranch_execnz .LBB5_13
; %bb.11:                               ;   in Loop: Header=BB5_10 Depth=2
	s_andn2_saveexec_b64 s[0:1], s[18:19]
	s_cbranch_execnz .LBB5_14
.LBB5_12:                               ;   in Loop: Header=BB5_10 Depth=2
	s_or_b64 exec, exec, s[0:1]
	s_mov_b64 s[0:1], -1
	s_and_saveexec_b64 s[18:19], vcc
	s_cbranch_execz .LBB5_9
	s_branch .LBB5_15
.LBB5_13:                               ;   in Loop: Header=BB5_10 Depth=2
	v_cmp_lt_i64_e64 s[0:1], v[21:22], v[15:16]
                                        ; implicit-def: $vgpr19
	v_cndmask_b32_e64 v16, v16, v22, s[0:1]
	v_cndmask_b32_e64 v15, v15, v21, s[0:1]
	s_andn2_saveexec_b64 s[0:1], s[18:19]
	s_cbranch_execz .LBB5_12
.LBB5_14:                               ;   in Loop: Header=BB5_10 Depth=2
	v_add_u32_e32 v19, v0, v19
	ds_write_b8 v19, v33
	s_or_b64 exec, exec, s[0:1]
	s_mov_b64 s[0:1], -1
	s_and_saveexec_b64 s[18:19], vcc
	s_cbranch_execz .LBB5_9
.LBB5_15:                               ;   in Loop: Header=BB5_10 Depth=2
	v_add_co_u32_e32 v7, vcc, 64, v7
	v_addc_co_u32_e32 v8, vcc, 0, v8, vcc
	v_cmp_ge_i64_e64 s[0:1], v[7:8], v[1:2]
	v_add_co_u32_e32 v17, vcc, 0x200, v17
	v_addc_co_u32_e32 v18, vcc, 0, v18, vcc
	s_orn2_b64 s[0:1], s[0:1], exec
	s_branch .LBB5_9
.LBB5_16:                               ;   in Loop: Header=BB5_7 Depth=1
	s_or_b64 exec, exec, s[12:13]
.LBB5_17:                               ;   in Loop: Header=BB5_7 Depth=1
	s_or_b64 exec, exec, s[8:9]
	v_cmp_lt_i64_e32 vcc, v[9:10], v[3:4]
	s_waitcnt lgkmcnt(0)
	s_and_saveexec_b64 s[8:9], vcc
	s_cbranch_execz .LBB5_27
; %bb.18:                               ;   in Loop: Header=BB5_7 Depth=1
	v_lshlrev_b64 v[17:18], 3, v[9:10]
	v_mov_b32_e32 v19, s15
	v_add_co_u32_e32 v17, vcc, s14, v17
	v_addc_co_u32_e32 v18, vcc, v19, v18, vcc
	s_mov_b64 s[12:13], 0
	s_branch .LBB5_20
.LBB5_19:                               ;   in Loop: Header=BB5_20 Depth=2
	s_or_b64 exec, exec, s[18:19]
	s_and_b64 s[0:1], exec, s[0:1]
	s_or_b64 s[12:13], s[0:1], s[12:13]
	s_andn2_b64 exec, exec, s[12:13]
	s_cbranch_execz .LBB5_26
.LBB5_20:                               ;   Parent Loop BB5_7 Depth=1
                                        ; =>  This Inner Loop Header: Depth=2
	global_load_dwordx2 v[19:20], v[17:18], off
	s_waitcnt vmcnt(0)
	v_subrev_co_u32_e32 v21, vcc, s20, v19
	v_subbrev_co_u32_e32 v22, vcc, 0, v20, vcc
	v_sub_co_u32_e32 v19, vcc, v21, v13
	v_subb_co_u32_e32 v20, vcc, v22, v14, vcc
	v_cmp_gt_i64_e32 vcc, 64, v[19:20]
	v_cmp_lt_i64_e64 s[0:1], 63, v[19:20]
	s_and_saveexec_b64 s[18:19], s[0:1]
	s_xor_b64 s[18:19], exec, s[18:19]
	s_cbranch_execnz .LBB5_23
; %bb.21:                               ;   in Loop: Header=BB5_20 Depth=2
	s_andn2_saveexec_b64 s[0:1], s[18:19]
	s_cbranch_execnz .LBB5_24
.LBB5_22:                               ;   in Loop: Header=BB5_20 Depth=2
	s_or_b64 exec, exec, s[0:1]
	s_mov_b64 s[0:1], -1
	s_and_saveexec_b64 s[18:19], vcc
	s_cbranch_execz .LBB5_19
	s_branch .LBB5_25
.LBB5_23:                               ;   in Loop: Header=BB5_20 Depth=2
	v_cmp_lt_i64_e64 s[0:1], v[21:22], v[15:16]
                                        ; implicit-def: $vgpr19
	v_cndmask_b32_e64 v16, v16, v22, s[0:1]
	v_cndmask_b32_e64 v15, v15, v21, s[0:1]
	s_andn2_saveexec_b64 s[0:1], s[18:19]
	s_cbranch_execz .LBB5_22
.LBB5_24:                               ;   in Loop: Header=BB5_20 Depth=2
	v_add_u32_e32 v19, v0, v19
	ds_write_b8 v19, v33
	s_or_b64 exec, exec, s[0:1]
	s_mov_b64 s[0:1], -1
	s_and_saveexec_b64 s[18:19], vcc
	s_cbranch_execz .LBB5_19
.LBB5_25:                               ;   in Loop: Header=BB5_20 Depth=2
	v_add_co_u32_e32 v9, vcc, 64, v9
	v_addc_co_u32_e32 v10, vcc, 0, v10, vcc
	v_cmp_ge_i64_e64 s[0:1], v[9:10], v[3:4]
	v_add_co_u32_e32 v17, vcc, 0x200, v17
	v_addc_co_u32_e32 v18, vcc, 0, v18, vcc
	s_orn2_b64 s[0:1], s[0:1], exec
	s_branch .LBB5_19
.LBB5_26:                               ;   in Loop: Header=BB5_7 Depth=1
	s_or_b64 exec, exec, s[12:13]
.LBB5_27:                               ;   in Loop: Header=BB5_7 Depth=1
	s_or_b64 exec, exec, s[8:9]
	s_waitcnt lgkmcnt(0)
	ds_read_u8 v17, v34
	s_waitcnt lgkmcnt(0)
	v_and_b32_e32 v18, 1, v17
	v_cmp_eq_u32_e64 s[0:1], 1, v18
	v_cmp_ne_u16_e32 vcc, 0, v17
	s_and_saveexec_b64 s[8:9], s[0:1]
	s_cbranch_execz .LBB5_6
; %bb.28:                               ;   in Loop: Header=BB5_7 Depth=1
	v_lshlrev_b64 v[17:18], 3, v[5:6]
	v_mov_b32_e32 v19, s5
	v_add_co_u32_e64 v17, s[0:1], s4, v17
	v_and_b32_e32 v20, vcc_lo, v11
	v_addc_co_u32_e64 v18, s[0:1], v19, v18, s[0:1]
	v_and_b32_e32 v19, vcc_hi, v12
	v_bcnt_u32_b32 v20, v20, 0
	v_bcnt_u32_b32 v19, v19, v20
	v_lshlrev_b32_e32 v19, 3, v19
	v_add_co_u32_e64 v17, s[0:1], v17, v19
	v_addc_co_u32_e64 v18, s[0:1], 0, v18, s[0:1]
	v_add_co_u32_e64 v13, s[0:1], v31, v13
	v_addc_co_u32_e64 v14, s[0:1], v32, v14, s[0:1]
	global_store_dwordx2 v[17:18], v[13:14], off offset:-8
	s_branch .LBB5_6
.LBB5_29:
	s_endpgm
	.section	.rodata,"a",@progbits
	.p2align	6, 0x0
	.amdhsa_kernel _ZN9rocsparseL38csrgeam_fill_symbolic_multipass_kernelILj256ELj64EllEEvllPKT1_PKT2_S3_S6_S3_PS4_21rocsparse_index_base_S8_S8_
		.amdhsa_group_segment_fixed_size 256
		.amdhsa_private_segment_fixed_size 0
		.amdhsa_kernarg_size 76
		.amdhsa_user_sgpr_count 6
		.amdhsa_user_sgpr_private_segment_buffer 1
		.amdhsa_user_sgpr_dispatch_ptr 0
		.amdhsa_user_sgpr_queue_ptr 0
		.amdhsa_user_sgpr_kernarg_segment_ptr 1
		.amdhsa_user_sgpr_dispatch_id 0
		.amdhsa_user_sgpr_flat_scratch_init 0
		.amdhsa_user_sgpr_private_segment_size 0
		.amdhsa_uses_dynamic_stack 0
		.amdhsa_system_sgpr_private_segment_wavefront_offset 0
		.amdhsa_system_sgpr_workgroup_id_x 1
		.amdhsa_system_sgpr_workgroup_id_y 0
		.amdhsa_system_sgpr_workgroup_id_z 0
		.amdhsa_system_sgpr_workgroup_info 0
		.amdhsa_system_vgpr_workitem_id 0
		.amdhsa_next_free_vgpr 35
		.amdhsa_next_free_sgpr 21
		.amdhsa_reserve_vcc 1
		.amdhsa_reserve_flat_scratch 0
		.amdhsa_float_round_mode_32 0
		.amdhsa_float_round_mode_16_64 0
		.amdhsa_float_denorm_mode_32 3
		.amdhsa_float_denorm_mode_16_64 3
		.amdhsa_dx10_clamp 1
		.amdhsa_ieee_mode 1
		.amdhsa_fp16_overflow 0
		.amdhsa_exception_fp_ieee_invalid_op 0
		.amdhsa_exception_fp_denorm_src 0
		.amdhsa_exception_fp_ieee_div_zero 0
		.amdhsa_exception_fp_ieee_overflow 0
		.amdhsa_exception_fp_ieee_underflow 0
		.amdhsa_exception_fp_ieee_inexact 0
		.amdhsa_exception_int_div_zero 0
	.end_amdhsa_kernel
	.section	.text._ZN9rocsparseL38csrgeam_fill_symbolic_multipass_kernelILj256ELj64EllEEvllPKT1_PKT2_S3_S6_S3_PS4_21rocsparse_index_base_S8_S8_,"axG",@progbits,_ZN9rocsparseL38csrgeam_fill_symbolic_multipass_kernelILj256ELj64EllEEvllPKT1_PKT2_S3_S6_S3_PS4_21rocsparse_index_base_S8_S8_,comdat
.Lfunc_end5:
	.size	_ZN9rocsparseL38csrgeam_fill_symbolic_multipass_kernelILj256ELj64EllEEvllPKT1_PKT2_S3_S6_S3_PS4_21rocsparse_index_base_S8_S8_, .Lfunc_end5-_ZN9rocsparseL38csrgeam_fill_symbolic_multipass_kernelILj256ELj64EllEEvllPKT1_PKT2_S3_S6_S3_PS4_21rocsparse_index_base_S8_S8_
                                        ; -- End function
	.set _ZN9rocsparseL38csrgeam_fill_symbolic_multipass_kernelILj256ELj64EllEEvllPKT1_PKT2_S3_S6_S3_PS4_21rocsparse_index_base_S8_S8_.num_vgpr, 35
	.set _ZN9rocsparseL38csrgeam_fill_symbolic_multipass_kernelILj256ELj64EllEEvllPKT1_PKT2_S3_S6_S3_PS4_21rocsparse_index_base_S8_S8_.num_agpr, 0
	.set _ZN9rocsparseL38csrgeam_fill_symbolic_multipass_kernelILj256ELj64EllEEvllPKT1_PKT2_S3_S6_S3_PS4_21rocsparse_index_base_S8_S8_.numbered_sgpr, 21
	.set _ZN9rocsparseL38csrgeam_fill_symbolic_multipass_kernelILj256ELj64EllEEvllPKT1_PKT2_S3_S6_S3_PS4_21rocsparse_index_base_S8_S8_.num_named_barrier, 0
	.set _ZN9rocsparseL38csrgeam_fill_symbolic_multipass_kernelILj256ELj64EllEEvllPKT1_PKT2_S3_S6_S3_PS4_21rocsparse_index_base_S8_S8_.private_seg_size, 0
	.set _ZN9rocsparseL38csrgeam_fill_symbolic_multipass_kernelILj256ELj64EllEEvllPKT1_PKT2_S3_S6_S3_PS4_21rocsparse_index_base_S8_S8_.uses_vcc, 1
	.set _ZN9rocsparseL38csrgeam_fill_symbolic_multipass_kernelILj256ELj64EllEEvllPKT1_PKT2_S3_S6_S3_PS4_21rocsparse_index_base_S8_S8_.uses_flat_scratch, 0
	.set _ZN9rocsparseL38csrgeam_fill_symbolic_multipass_kernelILj256ELj64EllEEvllPKT1_PKT2_S3_S6_S3_PS4_21rocsparse_index_base_S8_S8_.has_dyn_sized_stack, 0
	.set _ZN9rocsparseL38csrgeam_fill_symbolic_multipass_kernelILj256ELj64EllEEvllPKT1_PKT2_S3_S6_S3_PS4_21rocsparse_index_base_S8_S8_.has_recursion, 0
	.set _ZN9rocsparseL38csrgeam_fill_symbolic_multipass_kernelILj256ELj64EllEEvllPKT1_PKT2_S3_S6_S3_PS4_21rocsparse_index_base_S8_S8_.has_indirect_call, 0
	.section	.AMDGPU.csdata,"",@progbits
; Kernel info:
; codeLenInByte = 1468
; TotalNumSgprs: 25
; NumVgprs: 35
; ScratchSize: 0
; MemoryBound: 0
; FloatMode: 240
; IeeeMode: 1
; LDSByteSize: 256 bytes/workgroup (compile time only)
; SGPRBlocks: 3
; VGPRBlocks: 8
; NumSGPRsForWavesPerEU: 25
; NumVGPRsForWavesPerEU: 35
; Occupancy: 7
; WaveLimiterHint : 1
; COMPUTE_PGM_RSRC2:SCRATCH_EN: 0
; COMPUTE_PGM_RSRC2:USER_SGPR: 6
; COMPUTE_PGM_RSRC2:TRAP_HANDLER: 0
; COMPUTE_PGM_RSRC2:TGID_X_EN: 1
; COMPUTE_PGM_RSRC2:TGID_Y_EN: 0
; COMPUTE_PGM_RSRC2:TGID_Z_EN: 0
; COMPUTE_PGM_RSRC2:TIDIG_COMP_CNT: 0
	.section	.AMDGPU.gpr_maximums,"",@progbits
	.set amdgpu.max_num_vgpr, 0
	.set amdgpu.max_num_agpr, 0
	.set amdgpu.max_num_sgpr, 0
	.section	.AMDGPU.csdata,"",@progbits
	.type	__hip_cuid_1d9cf9eddd148335,@object ; @__hip_cuid_1d9cf9eddd148335
	.section	.bss,"aw",@nobits
	.globl	__hip_cuid_1d9cf9eddd148335
__hip_cuid_1d9cf9eddd148335:
	.byte	0                               ; 0x0
	.size	__hip_cuid_1d9cf9eddd148335, 1

	.ident	"AMD clang version 22.0.0git (https://github.com/RadeonOpenCompute/llvm-project roc-7.2.4 26084 f58b06dce1f9c15707c5f808fd002e18c2accf7e)"
	.section	".note.GNU-stack","",@progbits
	.addrsig
	.addrsig_sym __hip_cuid_1d9cf9eddd148335
	.amdgpu_metadata
---
amdhsa.kernels:
  - .args:
      - .offset:         0
        .size:           8
        .value_kind:     by_value
      - .offset:         8
        .size:           8
        .value_kind:     by_value
      - .actual_access:  read_only
        .address_space:  global
        .offset:         16
        .size:           8
        .value_kind:     global_buffer
      - .actual_access:  read_only
        .address_space:  global
        .offset:         24
        .size:           8
        .value_kind:     global_buffer
      - .actual_access:  read_only
        .address_space:  global
        .offset:         32
        .size:           8
        .value_kind:     global_buffer
      - .actual_access:  read_only
        .address_space:  global
        .offset:         40
        .size:           8
        .value_kind:     global_buffer
      - .actual_access:  read_only
        .address_space:  global
        .offset:         48
        .size:           8
        .value_kind:     global_buffer
      - .actual_access:  write_only
        .address_space:  global
        .offset:         56
        .size:           8
        .value_kind:     global_buffer
      - .offset:         64
        .size:           4
        .value_kind:     by_value
      - .offset:         68
        .size:           4
        .value_kind:     by_value
      - .offset:         72
        .size:           4
        .value_kind:     by_value
    .group_segment_fixed_size: 256
    .kernarg_segment_align: 8
    .kernarg_segment_size: 76
    .language:       OpenCL C
    .language_version:
      - 2
      - 0
    .max_flat_workgroup_size: 256
    .name:           _ZN9rocsparseL38csrgeam_fill_symbolic_multipass_kernelILj256ELj32EiiEEvllPKT1_PKT2_S3_S6_S3_PS4_21rocsparse_index_base_S8_S8_
    .private_segment_fixed_size: 0
    .sgpr_count:     24
    .sgpr_spill_count: 0
    .symbol:         _ZN9rocsparseL38csrgeam_fill_symbolic_multipass_kernelILj256ELj32EiiEEvllPKT1_PKT2_S3_S6_S3_PS4_21rocsparse_index_base_S8_S8_.kd
    .uniform_work_group_size: 1
    .uses_dynamic_stack: false
    .vgpr_count:     24
    .vgpr_spill_count: 0
    .wavefront_size: 64
  - .args:
      - .offset:         0
        .size:           8
        .value_kind:     by_value
      - .offset:         8
        .size:           8
        .value_kind:     by_value
      - .actual_access:  read_only
        .address_space:  global
        .offset:         16
        .size:           8
        .value_kind:     global_buffer
      - .actual_access:  read_only
        .address_space:  global
        .offset:         24
        .size:           8
        .value_kind:     global_buffer
      - .actual_access:  read_only
        .address_space:  global
        .offset:         32
        .size:           8
        .value_kind:     global_buffer
      - .actual_access:  read_only
        .address_space:  global
        .offset:         40
        .size:           8
        .value_kind:     global_buffer
      - .actual_access:  read_only
        .address_space:  global
        .offset:         48
        .size:           8
        .value_kind:     global_buffer
      - .actual_access:  write_only
        .address_space:  global
        .offset:         56
        .size:           8
        .value_kind:     global_buffer
      - .offset:         64
        .size:           4
        .value_kind:     by_value
      - .offset:         68
        .size:           4
        .value_kind:     by_value
      - .offset:         72
        .size:           4
        .value_kind:     by_value
    .group_segment_fixed_size: 256
    .kernarg_segment_align: 8
    .kernarg_segment_size: 76
    .language:       OpenCL C
    .language_version:
      - 2
      - 0
    .max_flat_workgroup_size: 256
    .name:           _ZN9rocsparseL38csrgeam_fill_symbolic_multipass_kernelILj256ELj64EiiEEvllPKT1_PKT2_S3_S6_S3_PS4_21rocsparse_index_base_S8_S8_
    .private_segment_fixed_size: 0
    .sgpr_count:     24
    .sgpr_spill_count: 0
    .symbol:         _ZN9rocsparseL38csrgeam_fill_symbolic_multipass_kernelILj256ELj64EiiEEvllPKT1_PKT2_S3_S6_S3_PS4_21rocsparse_index_base_S8_S8_.kd
    .uniform_work_group_size: 1
    .uses_dynamic_stack: false
    .vgpr_count:     26
    .vgpr_spill_count: 0
    .wavefront_size: 64
  - .args:
      - .offset:         0
        .size:           8
        .value_kind:     by_value
      - .offset:         8
        .size:           8
        .value_kind:     by_value
      - .actual_access:  read_only
        .address_space:  global
        .offset:         16
        .size:           8
        .value_kind:     global_buffer
      - .actual_access:  read_only
        .address_space:  global
        .offset:         24
        .size:           8
        .value_kind:     global_buffer
      - .actual_access:  read_only
        .address_space:  global
        .offset:         32
        .size:           8
        .value_kind:     global_buffer
      - .actual_access:  read_only
        .address_space:  global
        .offset:         40
        .size:           8
        .value_kind:     global_buffer
      - .actual_access:  read_only
        .address_space:  global
        .offset:         48
        .size:           8
        .value_kind:     global_buffer
      - .actual_access:  write_only
        .address_space:  global
        .offset:         56
        .size:           8
        .value_kind:     global_buffer
      - .offset:         64
        .size:           4
        .value_kind:     by_value
      - .offset:         68
        .size:           4
        .value_kind:     by_value
      - .offset:         72
        .size:           4
        .value_kind:     by_value
    .group_segment_fixed_size: 256
    .kernarg_segment_align: 8
    .kernarg_segment_size: 76
    .language:       OpenCL C
    .language_version:
      - 2
      - 0
    .max_flat_workgroup_size: 256
    .name:           _ZN9rocsparseL38csrgeam_fill_symbolic_multipass_kernelILj256ELj32EliEEvllPKT1_PKT2_S3_S6_S3_PS4_21rocsparse_index_base_S8_S8_
    .private_segment_fixed_size: 0
    .sgpr_count:     24
    .sgpr_spill_count: 0
    .symbol:         _ZN9rocsparseL38csrgeam_fill_symbolic_multipass_kernelILj256ELj32EliEEvllPKT1_PKT2_S3_S6_S3_PS4_21rocsparse_index_base_S8_S8_.kd
    .uniform_work_group_size: 1
    .uses_dynamic_stack: false
    .vgpr_count:     28
    .vgpr_spill_count: 0
    .wavefront_size: 64
  - .args:
      - .offset:         0
        .size:           8
        .value_kind:     by_value
      - .offset:         8
        .size:           8
        .value_kind:     by_value
      - .actual_access:  read_only
        .address_space:  global
        .offset:         16
        .size:           8
        .value_kind:     global_buffer
      - .actual_access:  read_only
        .address_space:  global
        .offset:         24
        .size:           8
        .value_kind:     global_buffer
      - .actual_access:  read_only
        .address_space:  global
        .offset:         32
        .size:           8
        .value_kind:     global_buffer
      - .actual_access:  read_only
        .address_space:  global
        .offset:         40
        .size:           8
        .value_kind:     global_buffer
      - .actual_access:  read_only
        .address_space:  global
        .offset:         48
        .size:           8
        .value_kind:     global_buffer
      - .actual_access:  write_only
        .address_space:  global
        .offset:         56
        .size:           8
        .value_kind:     global_buffer
      - .offset:         64
        .size:           4
        .value_kind:     by_value
      - .offset:         68
        .size:           4
        .value_kind:     by_value
      - .offset:         72
        .size:           4
        .value_kind:     by_value
    .group_segment_fixed_size: 256
    .kernarg_segment_align: 8
    .kernarg_segment_size: 76
    .language:       OpenCL C
    .language_version:
      - 2
      - 0
    .max_flat_workgroup_size: 256
    .name:           _ZN9rocsparseL38csrgeam_fill_symbolic_multipass_kernelILj256ELj64EliEEvllPKT1_PKT2_S3_S6_S3_PS4_21rocsparse_index_base_S8_S8_
    .private_segment_fixed_size: 0
    .sgpr_count:     24
    .sgpr_spill_count: 0
    .symbol:         _ZN9rocsparseL38csrgeam_fill_symbolic_multipass_kernelILj256ELj64EliEEvllPKT1_PKT2_S3_S6_S3_PS4_21rocsparse_index_base_S8_S8_.kd
    .uniform_work_group_size: 1
    .uses_dynamic_stack: false
    .vgpr_count:     31
    .vgpr_spill_count: 0
    .wavefront_size: 64
  - .args:
      - .offset:         0
        .size:           8
        .value_kind:     by_value
      - .offset:         8
        .size:           8
        .value_kind:     by_value
      - .actual_access:  read_only
        .address_space:  global
        .offset:         16
        .size:           8
        .value_kind:     global_buffer
      - .actual_access:  read_only
        .address_space:  global
        .offset:         24
        .size:           8
        .value_kind:     global_buffer
      - .actual_access:  read_only
        .address_space:  global
        .offset:         32
        .size:           8
        .value_kind:     global_buffer
      - .actual_access:  read_only
        .address_space:  global
        .offset:         40
        .size:           8
        .value_kind:     global_buffer
      - .actual_access:  read_only
        .address_space:  global
        .offset:         48
        .size:           8
        .value_kind:     global_buffer
      - .actual_access:  write_only
        .address_space:  global
        .offset:         56
        .size:           8
        .value_kind:     global_buffer
      - .offset:         64
        .size:           4
        .value_kind:     by_value
      - .offset:         68
        .size:           4
        .value_kind:     by_value
      - .offset:         72
        .size:           4
        .value_kind:     by_value
    .group_segment_fixed_size: 256
    .kernarg_segment_align: 8
    .kernarg_segment_size: 76
    .language:       OpenCL C
    .language_version:
      - 2
      - 0
    .max_flat_workgroup_size: 256
    .name:           _ZN9rocsparseL38csrgeam_fill_symbolic_multipass_kernelILj256ELj32EllEEvllPKT1_PKT2_S3_S6_S3_PS4_21rocsparse_index_base_S8_S8_
    .private_segment_fixed_size: 0
    .sgpr_count:     25
    .sgpr_spill_count: 0
    .symbol:         _ZN9rocsparseL38csrgeam_fill_symbolic_multipass_kernelILj256ELj32EllEEvllPKT1_PKT2_S3_S6_S3_PS4_21rocsparse_index_base_S8_S8_.kd
    .uniform_work_group_size: 1
    .uses_dynamic_stack: false
    .vgpr_count:     32
    .vgpr_spill_count: 0
    .wavefront_size: 64
  - .args:
      - .offset:         0
        .size:           8
        .value_kind:     by_value
      - .offset:         8
        .size:           8
        .value_kind:     by_value
      - .actual_access:  read_only
        .address_space:  global
        .offset:         16
        .size:           8
        .value_kind:     global_buffer
      - .actual_access:  read_only
        .address_space:  global
        .offset:         24
        .size:           8
        .value_kind:     global_buffer
      - .actual_access:  read_only
        .address_space:  global
        .offset:         32
        .size:           8
        .value_kind:     global_buffer
      - .actual_access:  read_only
        .address_space:  global
        .offset:         40
        .size:           8
        .value_kind:     global_buffer
      - .actual_access:  read_only
        .address_space:  global
        .offset:         48
        .size:           8
        .value_kind:     global_buffer
      - .actual_access:  write_only
        .address_space:  global
        .offset:         56
        .size:           8
        .value_kind:     global_buffer
      - .offset:         64
        .size:           4
        .value_kind:     by_value
      - .offset:         68
        .size:           4
        .value_kind:     by_value
      - .offset:         72
        .size:           4
        .value_kind:     by_value
    .group_segment_fixed_size: 256
    .kernarg_segment_align: 8
    .kernarg_segment_size: 76
    .language:       OpenCL C
    .language_version:
      - 2
      - 0
    .max_flat_workgroup_size: 256
    .name:           _ZN9rocsparseL38csrgeam_fill_symbolic_multipass_kernelILj256ELj64EllEEvllPKT1_PKT2_S3_S6_S3_PS4_21rocsparse_index_base_S8_S8_
    .private_segment_fixed_size: 0
    .sgpr_count:     25
    .sgpr_spill_count: 0
    .symbol:         _ZN9rocsparseL38csrgeam_fill_symbolic_multipass_kernelILj256ELj64EllEEvllPKT1_PKT2_S3_S6_S3_PS4_21rocsparse_index_base_S8_S8_.kd
    .uniform_work_group_size: 1
    .uses_dynamic_stack: false
    .vgpr_count:     35
    .vgpr_spill_count: 0
    .wavefront_size: 64
amdhsa.target:   amdgcn-amd-amdhsa--gfx906
amdhsa.version:
  - 1
  - 2
...

	.end_amdgpu_metadata
